;; amdgpu-corpus repo=ROCm/rocFFT kind=compiled arch=gfx906 opt=O3
	.text
	.amdgcn_target "amdgcn-amd-amdhsa--gfx906"
	.amdhsa_code_object_version 6
	.protected	fft_rtc_back_len1625_factors_13_5_5_5_wgs_130_tpt_65_halfLds_half_op_CI_CI_sbrr_dirReg ; -- Begin function fft_rtc_back_len1625_factors_13_5_5_5_wgs_130_tpt_65_halfLds_half_op_CI_CI_sbrr_dirReg
	.globl	fft_rtc_back_len1625_factors_13_5_5_5_wgs_130_tpt_65_halfLds_half_op_CI_CI_sbrr_dirReg
	.p2align	8
	.type	fft_rtc_back_len1625_factors_13_5_5_5_wgs_130_tpt_65_halfLds_half_op_CI_CI_sbrr_dirReg,@function
fft_rtc_back_len1625_factors_13_5_5_5_wgs_130_tpt_65_halfLds_half_op_CI_CI_sbrr_dirReg: ; @fft_rtc_back_len1625_factors_13_5_5_5_wgs_130_tpt_65_halfLds_half_op_CI_CI_sbrr_dirReg
; %bb.0:
	s_load_dwordx4 s[16:19], s[4:5], 0x18
	s_load_dwordx4 s[12:15], s[4:5], 0x0
	;; [unrolled: 1-line block ×3, first 2 shown]
	v_mul_u32_u24_e32 v1, 0x3f1, v0
	v_lshrrev_b32_e32 v11, 16, v1
	s_waitcnt lgkmcnt(0)
	s_load_dwordx2 s[20:21], s[16:17], 0x0
	s_load_dwordx2 s[2:3], s[18:19], 0x0
	v_cmp_lt_u64_e64 s[0:1], s[14:15], 2
	v_mov_b32_e32 v7, 0
	v_mov_b32_e32 v5, 0
	v_lshl_add_u32 v9, s6, 1, v11
	v_mov_b32_e32 v10, v7
	s_and_b64 vcc, exec, s[0:1]
	v_mov_b32_e32 v6, 0
	s_cbranch_vccnz .LBB0_8
; %bb.1:
	s_load_dwordx2 s[0:1], s[4:5], 0x10
	s_add_u32 s6, s18, 8
	s_addc_u32 s7, s19, 0
	s_add_u32 s22, s16, 8
	s_addc_u32 s23, s17, 0
	v_mov_b32_e32 v5, 0
	s_waitcnt lgkmcnt(0)
	s_add_u32 s24, s0, 8
	v_mov_b32_e32 v6, 0
	v_mov_b32_e32 v1, v5
	s_addc_u32 s25, s1, 0
	s_mov_b64 s[26:27], 1
	v_mov_b32_e32 v2, v6
.LBB0_2:                                ; =>This Inner Loop Header: Depth=1
	s_load_dwordx2 s[28:29], s[24:25], 0x0
                                        ; implicit-def: $vgpr3_vgpr4
	s_waitcnt lgkmcnt(0)
	v_or_b32_e32 v8, s29, v10
	v_cmp_ne_u64_e32 vcc, 0, v[7:8]
	s_and_saveexec_b64 s[0:1], vcc
	s_xor_b64 s[30:31], exec, s[0:1]
	s_cbranch_execz .LBB0_4
; %bb.3:                                ;   in Loop: Header=BB0_2 Depth=1
	v_cvt_f32_u32_e32 v3, s28
	v_cvt_f32_u32_e32 v4, s29
	s_sub_u32 s0, 0, s28
	s_subb_u32 s1, 0, s29
	v_mac_f32_e32 v3, 0x4f800000, v4
	v_rcp_f32_e32 v3, v3
	v_mul_f32_e32 v3, 0x5f7ffffc, v3
	v_mul_f32_e32 v4, 0x2f800000, v3
	v_trunc_f32_e32 v4, v4
	v_mac_f32_e32 v3, 0xcf800000, v4
	v_cvt_u32_f32_e32 v4, v4
	v_cvt_u32_f32_e32 v3, v3
	v_mul_lo_u32 v8, s0, v4
	v_mul_hi_u32 v12, s0, v3
	v_mul_lo_u32 v14, s1, v3
	v_mul_lo_u32 v13, s0, v3
	v_add_u32_e32 v8, v12, v8
	v_add_u32_e32 v8, v8, v14
	v_mul_hi_u32 v12, v3, v13
	v_mul_lo_u32 v14, v3, v8
	v_mul_hi_u32 v16, v3, v8
	v_mul_hi_u32 v15, v4, v13
	v_mul_lo_u32 v13, v4, v13
	v_mul_hi_u32 v17, v4, v8
	v_add_co_u32_e32 v12, vcc, v12, v14
	v_addc_co_u32_e32 v14, vcc, 0, v16, vcc
	v_mul_lo_u32 v8, v4, v8
	v_add_co_u32_e32 v12, vcc, v12, v13
	v_addc_co_u32_e32 v12, vcc, v14, v15, vcc
	v_addc_co_u32_e32 v13, vcc, 0, v17, vcc
	v_add_co_u32_e32 v8, vcc, v12, v8
	v_addc_co_u32_e32 v12, vcc, 0, v13, vcc
	v_add_co_u32_e32 v3, vcc, v3, v8
	v_addc_co_u32_e32 v4, vcc, v4, v12, vcc
	v_mul_lo_u32 v8, s0, v4
	v_mul_hi_u32 v12, s0, v3
	v_mul_lo_u32 v13, s1, v3
	v_mul_lo_u32 v14, s0, v3
	v_add_u32_e32 v8, v12, v8
	v_add_u32_e32 v8, v8, v13
	v_mul_lo_u32 v15, v3, v8
	v_mul_hi_u32 v16, v3, v14
	v_mul_hi_u32 v17, v3, v8
	;; [unrolled: 1-line block ×3, first 2 shown]
	v_mul_lo_u32 v14, v4, v14
	v_mul_hi_u32 v12, v4, v8
	v_add_co_u32_e32 v15, vcc, v16, v15
	v_addc_co_u32_e32 v16, vcc, 0, v17, vcc
	v_mul_lo_u32 v8, v4, v8
	v_add_co_u32_e32 v14, vcc, v15, v14
	v_addc_co_u32_e32 v13, vcc, v16, v13, vcc
	v_addc_co_u32_e32 v12, vcc, 0, v12, vcc
	v_add_co_u32_e32 v8, vcc, v13, v8
	v_addc_co_u32_e32 v12, vcc, 0, v12, vcc
	v_add_co_u32_e32 v8, vcc, v3, v8
	v_addc_co_u32_e32 v12, vcc, v4, v12, vcc
	v_mad_u64_u32 v[3:4], s[0:1], v9, v12, 0
	v_mul_hi_u32 v13, v9, v8
	v_add_co_u32_e32 v14, vcc, v13, v3
	v_addc_co_u32_e32 v15, vcc, 0, v4, vcc
	v_mad_u64_u32 v[3:4], s[0:1], v10, v8, 0
	v_mad_u64_u32 v[12:13], s[0:1], v10, v12, 0
	v_add_co_u32_e32 v3, vcc, v14, v3
	v_addc_co_u32_e32 v3, vcc, v15, v4, vcc
	v_addc_co_u32_e32 v4, vcc, 0, v13, vcc
	v_add_co_u32_e32 v8, vcc, v3, v12
	v_addc_co_u32_e32 v12, vcc, 0, v4, vcc
	v_mul_lo_u32 v13, s29, v8
	v_mul_lo_u32 v14, s28, v12
	v_mad_u64_u32 v[3:4], s[0:1], s28, v8, 0
	v_add3_u32 v4, v4, v14, v13
	v_sub_u32_e32 v13, v10, v4
	v_mov_b32_e32 v14, s29
	v_sub_co_u32_e32 v3, vcc, v9, v3
	v_subb_co_u32_e64 v13, s[0:1], v13, v14, vcc
	v_subrev_co_u32_e64 v14, s[0:1], s28, v3
	v_subbrev_co_u32_e64 v13, s[0:1], 0, v13, s[0:1]
	v_cmp_le_u32_e64 s[0:1], s29, v13
	v_cndmask_b32_e64 v15, 0, -1, s[0:1]
	v_cmp_le_u32_e64 s[0:1], s28, v14
	v_cndmask_b32_e64 v14, 0, -1, s[0:1]
	v_cmp_eq_u32_e64 s[0:1], s29, v13
	v_cndmask_b32_e64 v13, v15, v14, s[0:1]
	v_add_co_u32_e64 v14, s[0:1], 2, v8
	v_addc_co_u32_e64 v15, s[0:1], 0, v12, s[0:1]
	v_add_co_u32_e64 v16, s[0:1], 1, v8
	v_addc_co_u32_e64 v17, s[0:1], 0, v12, s[0:1]
	v_subb_co_u32_e32 v4, vcc, v10, v4, vcc
	v_cmp_ne_u32_e64 s[0:1], 0, v13
	v_cmp_le_u32_e32 vcc, s29, v4
	v_cndmask_b32_e64 v13, v17, v15, s[0:1]
	v_cndmask_b32_e64 v15, 0, -1, vcc
	v_cmp_le_u32_e32 vcc, s28, v3
	v_cndmask_b32_e64 v3, 0, -1, vcc
	v_cmp_eq_u32_e32 vcc, s29, v4
	v_cndmask_b32_e32 v3, v15, v3, vcc
	v_cmp_ne_u32_e32 vcc, 0, v3
	v_cndmask_b32_e64 v3, v16, v14, s[0:1]
	v_cndmask_b32_e32 v4, v12, v13, vcc
	v_cndmask_b32_e32 v3, v8, v3, vcc
.LBB0_4:                                ;   in Loop: Header=BB0_2 Depth=1
	s_andn2_saveexec_b64 s[0:1], s[30:31]
	s_cbranch_execz .LBB0_6
; %bb.5:                                ;   in Loop: Header=BB0_2 Depth=1
	v_cvt_f32_u32_e32 v3, s28
	s_sub_i32 s30, 0, s28
	v_rcp_iflag_f32_e32 v3, v3
	v_mul_f32_e32 v3, 0x4f7ffffe, v3
	v_cvt_u32_f32_e32 v3, v3
	v_mul_lo_u32 v4, s30, v3
	v_mul_hi_u32 v4, v3, v4
	v_add_u32_e32 v3, v3, v4
	v_mul_hi_u32 v3, v9, v3
	v_mul_lo_u32 v4, v3, s28
	v_add_u32_e32 v8, 1, v3
	v_sub_u32_e32 v4, v9, v4
	v_subrev_u32_e32 v12, s28, v4
	v_cmp_le_u32_e32 vcc, s28, v4
	v_cndmask_b32_e32 v4, v4, v12, vcc
	v_cndmask_b32_e32 v3, v3, v8, vcc
	v_add_u32_e32 v8, 1, v3
	v_cmp_le_u32_e32 vcc, s28, v4
	v_cndmask_b32_e32 v3, v3, v8, vcc
	v_mov_b32_e32 v4, v7
.LBB0_6:                                ;   in Loop: Header=BB0_2 Depth=1
	s_or_b64 exec, exec, s[0:1]
	v_mul_lo_u32 v8, v4, s28
	v_mul_lo_u32 v14, v3, s29
	v_mad_u64_u32 v[12:13], s[0:1], v3, s28, 0
	s_load_dwordx2 s[0:1], s[22:23], 0x0
	s_load_dwordx2 s[28:29], s[6:7], 0x0
	v_add3_u32 v8, v13, v14, v8
	v_sub_co_u32_e32 v9, vcc, v9, v12
	v_subb_co_u32_e32 v8, vcc, v10, v8, vcc
	s_waitcnt lgkmcnt(0)
	v_mul_lo_u32 v10, s0, v8
	v_mul_lo_u32 v12, s1, v9
	v_mad_u64_u32 v[5:6], s[0:1], s0, v9, v[5:6]
	v_mul_lo_u32 v8, s28, v8
	v_mul_lo_u32 v13, s29, v9
	v_mad_u64_u32 v[1:2], s[0:1], s28, v9, v[1:2]
	s_add_u32 s26, s26, 1
	s_addc_u32 s27, s27, 0
	s_add_u32 s6, s6, 8
	v_add3_u32 v2, v13, v2, v8
	s_addc_u32 s7, s7, 0
	v_mov_b32_e32 v8, s14
	s_add_u32 s22, s22, 8
	v_mov_b32_e32 v9, s15
	s_addc_u32 s23, s23, 0
	v_cmp_ge_u64_e32 vcc, s[26:27], v[8:9]
	s_add_u32 s24, s24, 8
	v_add3_u32 v6, v12, v6, v10
	s_addc_u32 s25, s25, 0
	s_cbranch_vccnz .LBB0_9
; %bb.7:                                ;   in Loop: Header=BB0_2 Depth=1
	v_mov_b32_e32 v10, v4
	v_mov_b32_e32 v9, v3
	s_branch .LBB0_2
.LBB0_8:
	v_mov_b32_e32 v1, v5
	v_mov_b32_e32 v3, v9
	;; [unrolled: 1-line block ×4, first 2 shown]
.LBB0_9:
	s_load_dwordx2 s[0:1], s[4:5], 0x28
	s_lshl_b64 s[14:15], s[14:15], 3
	s_add_u32 s4, s18, s14
	s_addc_u32 s5, s19, s15
                                        ; implicit-def: $sgpr18
                                        ; implicit-def: $vgpr9
	s_waitcnt lgkmcnt(0)
	v_cmp_gt_u64_e32 vcc, s[0:1], v[3:4]
	v_cmp_le_u64_e64 s[0:1], s[0:1], v[3:4]
	s_and_saveexec_b64 s[6:7], s[0:1]
	s_xor_b64 s[0:1], exec, s[6:7]
; %bb.10:
	s_mov_b32 s6, 0x3f03f04
	v_mul_hi_u32 v5, v0, s6
	s_mov_b32 s18, 0
	v_mul_u32_u24_e32 v5, 0x41, v5
	v_sub_u32_e32 v9, v0, v5
                                        ; implicit-def: $vgpr0
                                        ; implicit-def: $vgpr5_vgpr6
; %bb.11:
	s_or_saveexec_b64 s[6:7], s[0:1]
	s_load_dwordx2 s[4:5], s[4:5], 0x0
	v_mov_b32_e32 v15, s18
	v_mov_b32_e32 v47, s18
                                        ; implicit-def: $vgpr48
                                        ; implicit-def: $vgpr29
                                        ; implicit-def: $vgpr49
                                        ; implicit-def: $vgpr7
                                        ; implicit-def: $vgpr50
                                        ; implicit-def: $vgpr8
                                        ; implicit-def: $vgpr51
                                        ; implicit-def: $vgpr10
                                        ; implicit-def: $vgpr52
                                        ; implicit-def: $vgpr12
                                        ; implicit-def: $vgpr53
                                        ; implicit-def: $vgpr13
                                        ; implicit-def: $vgpr54
                                        ; implicit-def: $vgpr14
                                        ; implicit-def: $vgpr42
                                        ; implicit-def: $vgpr24
                                        ; implicit-def: $vgpr40
                                        ; implicit-def: $vgpr22
                                        ; implicit-def: $vgpr39
                                        ; implicit-def: $vgpr21
                                        ; implicit-def: $vgpr38
                                        ; implicit-def: $vgpr20
                                        ; implicit-def: $vgpr36
                                        ; implicit-def: $vgpr18
                                        ; implicit-def: $vgpr35
                                        ; implicit-def: $vgpr17
                                        ; implicit-def: $vgpr46
                                        ; implicit-def: $vgpr34
                                        ; implicit-def: $vgpr45
                                        ; implicit-def: $vgpr33
                                        ; implicit-def: $vgpr44
                                        ; implicit-def: $vgpr32
                                        ; implicit-def: $vgpr43
                                        ; implicit-def: $vgpr31
                                        ; implicit-def: $vgpr41
                                        ; implicit-def: $vgpr30
                                        ; implicit-def: $vgpr37
                                        ; implicit-def: $vgpr19
                                        ; implicit-def: $vgpr61
                                        ; implicit-def: $vgpr28
                                        ; implicit-def: $vgpr60
                                        ; implicit-def: $vgpr27
                                        ; implicit-def: $vgpr59
                                        ; implicit-def: $vgpr26
                                        ; implicit-def: $vgpr58
                                        ; implicit-def: $vgpr25
                                        ; implicit-def: $vgpr57
                                        ; implicit-def: $vgpr23
                                        ; implicit-def: $vgpr55
                                        ; implicit-def: $vgpr16
	s_xor_b64 exec, exec, s[6:7]
	s_cbranch_execz .LBB0_15
; %bb.12:
	s_add_u32 s0, s16, s14
	s_mov_b32 s14, 0x3f03f04
	v_mul_hi_u32 v7, v0, s14
	s_addc_u32 s1, s17, s15
	s_load_dwordx2 s[0:1], s[0:1], 0x0
	v_lshlrev_b64 v[5:6], 2, v[5:6]
	v_mul_u32_u24_e32 v7, 0x41, v7
	v_sub_u32_e32 v9, v0, v7
	v_mad_u64_u32 v[7:8], s[14:15], s20, v9, 0
	s_waitcnt lgkmcnt(0)
	v_mul_lo_u32 v10, s1, v3
	v_mul_lo_u32 v16, s0, v4
	v_mad_u64_u32 v[12:13], s[0:1], s0, v3, 0
	v_mov_b32_e32 v0, v8
	v_mad_u64_u32 v[14:15], s[0:1], s21, v9, v[0:1]
	v_add3_u32 v13, v13, v16, v10
	v_lshlrev_b64 v[12:13], 2, v[12:13]
	v_mov_b32_e32 v0, s9
	v_add_co_u32_e64 v10, s[0:1], s8, v12
	v_add_u32_e32 v15, 0x7d, v9
	v_mov_b32_e32 v8, v14
	v_addc_co_u32_e64 v14, s[0:1], v0, v13, s[0:1]
	v_mad_u64_u32 v[12:13], s[0:1], s20, v15, 0
	v_add_co_u32_e64 v0, s[0:1], v10, v5
	v_addc_co_u32_e64 v5, s[0:1], v14, v6, s[0:1]
	v_lshlrev_b64 v[6:7], 2, v[7:8]
	v_mov_b32_e32 v8, v13
	v_mad_u64_u32 v[13:14], s[0:1], s21, v15, v[8:9]
	v_add_u32_e32 v10, 0xfa, v9
	v_mad_u64_u32 v[14:15], s[0:1], s20, v10, 0
	v_add_co_u32_e64 v17, s[0:1], v0, v6
	v_mov_b32_e32 v8, v15
	v_addc_co_u32_e64 v18, s[0:1], v5, v7, s[0:1]
	v_lshlrev_b64 v[6:7], 2, v[12:13]
	v_mad_u64_u32 v[12:13], s[0:1], s21, v10, v[8:9]
	v_add_u32_e32 v10, 0x177, v9
	v_mad_u64_u32 v[19:20], s[0:1], s20, v10, 0
	v_add_co_u32_e64 v21, s[0:1], v0, v6
	v_mov_b32_e32 v8, v20
	v_addc_co_u32_e64 v22, s[0:1], v5, v7, s[0:1]
	v_mov_b32_e32 v15, v12
	v_mad_u64_u32 v[12:13], s[0:1], s21, v10, v[8:9]
	v_add_u32_e32 v10, 0x1f4, v9
	v_lshlrev_b64 v[6:7], 2, v[14:15]
	v_mad_u64_u32 v[13:14], s[0:1], s20, v10, 0
	v_add_co_u32_e64 v23, s[0:1], v0, v6
	v_mov_b32_e32 v8, v14
	v_addc_co_u32_e64 v24, s[0:1], v5, v7, s[0:1]
	v_mad_u64_u32 v[14:15], s[0:1], s21, v10, v[8:9]
	v_add_u32_e32 v10, 0x271, v9
	v_mad_u64_u32 v[15:16], s[0:1], s20, v10, 0
	v_mov_b32_e32 v20, v12
	v_lshlrev_b64 v[6:7], 2, v[19:20]
	v_mov_b32_e32 v8, v16
	v_add_co_u32_e64 v19, s[0:1], v0, v6
	v_addc_co_u32_e64 v20, s[0:1], v5, v7, s[0:1]
	v_lshlrev_b64 v[6:7], 2, v[13:14]
	v_mad_u64_u32 v[12:13], s[0:1], s21, v10, v[8:9]
	v_add_u32_e32 v10, 0x2ee, v9
	v_mad_u64_u32 v[13:14], s[0:1], s20, v10, 0
	v_add_co_u32_e64 v25, s[0:1], v0, v6
	v_mov_b32_e32 v16, v12
	v_mov_b32_e32 v8, v14
	v_addc_co_u32_e64 v26, s[0:1], v5, v7, s[0:1]
	v_lshlrev_b64 v[6:7], 2, v[15:16]
	v_mad_u64_u32 v[14:15], s[0:1], s21, v10, v[8:9]
	v_add_u32_e32 v10, 0x36b, v9
	v_mad_u64_u32 v[15:16], s[0:1], s20, v10, 0
	v_add_co_u32_e64 v27, s[0:1], v0, v6
	v_mov_b32_e32 v8, v16
	v_addc_co_u32_e64 v28, s[0:1], v5, v7, s[0:1]
	v_lshlrev_b64 v[6:7], 2, v[13:14]
	v_mad_u64_u32 v[12:13], s[0:1], s21, v10, v[8:9]
	v_add_co_u32_e64 v30, s[0:1], v0, v6
	v_add_u32_e32 v8, 0x3e8, v9
	v_addc_co_u32_e64 v31, s[0:1], v5, v7, s[0:1]
	v_mad_u64_u32 v[32:33], s[0:1], s20, v8, 0
	v_mov_b32_e32 v16, v12
	v_lshlrev_b64 v[6:7], 2, v[15:16]
	v_add_u32_e32 v15, 0x465, v9
	v_add_co_u32_e64 v34, s[0:1], v0, v6
	v_mov_b32_e32 v6, v33
	v_addc_co_u32_e64 v35, s[0:1], v5, v7, s[0:1]
	v_mad_u64_u32 v[6:7], s[0:1], s21, v8, v[6:7]
	global_load_dword v29, v[17:18], off
	global_load_dword v7, v[21:22], off
	;; [unrolled: 1-line block ×8, first 2 shown]
	v_mad_u64_u32 v[36:37], s[0:1], s20, v15, 0
	v_mov_b32_e32 v33, v6
	v_lshlrev_b64 v[17:18], 2, v[32:33]
	v_mov_b32_e32 v6, v37
	v_mov_b32_e32 v47, 0
                                        ; implicit-def: $vgpr41
                                        ; implicit-def: $vgpr43
                                        ; implicit-def: $vgpr44
                                        ; implicit-def: $vgpr45
                                        ; implicit-def: $vgpr34
                                        ; implicit-def: $vgpr46
                                        ; implicit-def: $vgpr35
                                        ; implicit-def: $vgpr38
                                        ; implicit-def: $vgpr39
                                        ; implicit-def: $vgpr40
                                        ; implicit-def: $vgpr42
	s_waitcnt vmcnt(6)
	v_mad_u64_u32 v[19:20], s[0:1], s21, v15, v[6:7]
	v_add_u32_e32 v15, 0x4e2, v9
	v_mad_u64_u32 v[20:21], s[0:1], s20, v15, 0
	v_add_co_u32_e64 v17, s[0:1], v0, v17
	v_mov_b32_e32 v6, v21
	v_addc_co_u32_e64 v18, s[0:1], v5, v18, s[0:1]
	v_mad_u64_u32 v[24:25], s[0:1], s21, v15, v[6:7]
	v_add_u32_e32 v15, 0x55f, v9
	v_mad_u64_u32 v[25:26], s[0:1], s20, v15, 0
	v_mov_b32_e32 v37, v19
	v_lshlrev_b64 v[22:23], 2, v[36:37]
	v_mov_b32_e32 v21, v24
	v_add_co_u32_e64 v30, s[0:1], v0, v22
	v_mov_b32_e32 v6, v26
	v_addc_co_u32_e64 v31, s[0:1], v5, v23, s[0:1]
	v_lshlrev_b64 v[19:20], 2, v[20:21]
	v_mad_u64_u32 v[21:22], s[0:1], s21, v15, v[6:7]
	v_add_u32_e32 v15, 0x5dc, v9
	v_mad_u64_u32 v[22:23], s[0:1], s20, v15, 0
	v_add_co_u32_e64 v19, s[0:1], v0, v19
	v_mov_b32_e32 v26, v21
	v_mov_b32_e32 v6, v23
	v_addc_co_u32_e64 v20, s[0:1], v5, v20, s[0:1]
	v_lshlrev_b64 v[24:25], 2, v[25:26]
	v_mad_u64_u32 v[26:27], s[0:1], s21, v15, v[6:7]
	v_add_co_u32_e64 v32, s[0:1], v0, v24
	v_mov_b32_e32 v23, v26
	v_lshlrev_b64 v[21:22], 2, v[22:23]
	v_addc_co_u32_e64 v33, s[0:1], v5, v25, s[0:1]
	v_add_co_u32_e64 v21, s[0:1], v0, v21
	v_addc_co_u32_e64 v22, s[0:1], v5, v22, s[0:1]
	global_load_dword v23, v[17:18], off
	global_load_dword v25, v[30:31], off
	;; [unrolled: 1-line block ×5, first 2 shown]
	v_cmp_gt_u32_e64 s[0:1], 60, v9
	v_mov_b32_e32 v15, 0
                                        ; implicit-def: $vgpr19
                                        ; implicit-def: $vgpr37
                                        ; implicit-def: $vgpr30
                                        ; implicit-def: $vgpr31
                                        ; implicit-def: $vgpr32
                                        ; implicit-def: $vgpr33
                                        ; implicit-def: $vgpr17
                                        ; implicit-def: $vgpr18
                                        ; implicit-def: $vgpr36
                                        ; implicit-def: $vgpr20
                                        ; implicit-def: $vgpr21
                                        ; implicit-def: $vgpr22
                                        ; implicit-def: $vgpr24
	s_and_saveexec_b64 s[8:9], s[0:1]
	s_cbranch_execz .LBB0_14
; %bb.13:
	v_add_u32_e32 v15, 0x41, v9
	v_mad_u64_u32 v[17:18], s[0:1], s20, v15, 0
	v_add_u32_e32 v24, 0xbe, v9
	v_mad_u64_u32 v[19:20], s[0:1], s20, v24, 0
	v_mov_b32_e32 v6, v18
	v_mad_u64_u32 v[21:22], s[0:1], s21, v15, v[6:7]
	v_mov_b32_e32 v6, v20
	v_add_u32_e32 v15, 0x13b, v9
	v_mov_b32_e32 v18, v21
	v_mad_u64_u32 v[20:21], s[0:1], s21, v24, v[6:7]
	v_mad_u64_u32 v[21:22], s[0:1], s20, v15, 0
	v_lshlrev_b64 v[17:18], 2, v[17:18]
	v_add_co_u32_e64 v30, s[0:1], v0, v17
	v_mov_b32_e32 v6, v22
	v_addc_co_u32_e64 v31, s[0:1], v5, v18, s[0:1]
	v_lshlrev_b64 v[17:18], 2, v[19:20]
	v_mad_u64_u32 v[19:20], s[0:1], s21, v15, v[6:7]
	v_add_u32_e32 v15, 0x1b8, v9
	v_mad_u64_u32 v[32:33], s[0:1], s20, v15, 0
	v_add_co_u32_e64 v34, s[0:1], v0, v17
	v_mov_b32_e32 v6, v33
	v_addc_co_u32_e64 v35, s[0:1], v5, v18, s[0:1]
	v_mov_b32_e32 v22, v19
	v_mad_u64_u32 v[19:20], s[0:1], s21, v15, v[6:7]
	v_add_u32_e32 v15, 0x235, v9
	v_lshlrev_b64 v[17:18], 2, v[21:22]
	v_mad_u64_u32 v[20:21], s[0:1], s20, v15, 0
	v_add_co_u32_e64 v36, s[0:1], v0, v17
	v_mov_b32_e32 v6, v21
	v_addc_co_u32_e64 v37, s[0:1], v5, v18, s[0:1]
	v_mov_b32_e32 v33, v19
	v_mad_u64_u32 v[21:22], s[0:1], s21, v15, v[6:7]
	v_add_u32_e32 v15, 0x2b2, v9
	v_lshlrev_b64 v[17:18], 2, v[32:33]
	v_mad_u64_u32 v[32:33], s[0:1], s20, v15, 0
	v_add_co_u32_e64 v38, s[0:1], v0, v17
	v_mov_b32_e32 v6, v33
	v_addc_co_u32_e64 v39, s[0:1], v5, v18, s[0:1]
	v_lshlrev_b64 v[17:18], 2, v[20:21]
	v_mad_u64_u32 v[19:20], s[0:1], s21, v15, v[6:7]
	v_add_u32_e32 v15, 0x32f, v9
	v_mad_u64_u32 v[20:21], s[0:1], s20, v15, 0
	v_add_co_u32_e64 v40, s[0:1], v0, v17
	v_mov_b32_e32 v6, v21
	v_addc_co_u32_e64 v41, s[0:1], v5, v18, s[0:1]
	v_mov_b32_e32 v33, v19
	v_mad_u64_u32 v[21:22], s[0:1], s21, v15, v[6:7]
	v_add_u32_e32 v15, 0x3ac, v9
	v_lshlrev_b64 v[17:18], 2, v[32:33]
	v_mad_u64_u32 v[32:33], s[0:1], s20, v15, 0
	v_add_co_u32_e64 v42, s[0:1], v0, v17
	v_mov_b32_e32 v6, v33
	v_addc_co_u32_e64 v43, s[0:1], v5, v18, s[0:1]
	v_lshlrev_b64 v[17:18], 2, v[20:21]
	v_mad_u64_u32 v[19:20], s[0:1], s21, v15, v[6:7]
	v_add_co_u32_e64 v44, s[0:1], v0, v17
	v_mov_b32_e32 v33, v19
	v_add_u32_e32 v15, 0x429, v9
	v_addc_co_u32_e64 v45, s[0:1], v5, v18, s[0:1]
	v_lshlrev_b64 v[17:18], 2, v[32:33]
	v_mad_u64_u32 v[32:33], s[0:1], s20, v15, 0
	v_add_co_u32_e64 v48, s[0:1], v0, v17
	v_mov_b32_e32 v6, v33
	v_addc_co_u32_e64 v49, s[0:1], v5, v18, s[0:1]
	v_mad_u64_u32 v[46:47], s[0:1], s21, v15, v[6:7]
	v_add_u32_e32 v15, 0x4a6, v9
	v_mad_u64_u32 v[50:51], s[0:1], s20, v15, 0
	v_mov_b32_e32 v33, v46
	global_load_dword v47, v[30:31], off
	global_load_dword v24, v[34:35], off
	;; [unrolled: 1-line block ×8, first 2 shown]
	v_mov_b32_e32 v6, v51
	v_lshlrev_b64 v[30:31], 2, v[32:33]
	v_mad_u64_u32 v[32:33], s[0:1], s21, v15, v[6:7]
	v_add_u32_e32 v15, 0x523, v9
	v_mad_u64_u32 v[33:34], s[0:1], s20, v15, 0
	v_add_co_u32_e64 v35, s[0:1], v0, v30
	v_mov_b32_e32 v6, v34
	v_addc_co_u32_e64 v36, s[0:1], v5, v31, s[0:1]
	v_mad_u64_u32 v[37:38], s[0:1], s21, v15, v[6:7]
	v_add_u32_e32 v15, 0x5a0, v9
	v_mad_u64_u32 v[38:39], s[0:1], s20, v15, 0
	v_mov_b32_e32 v51, v32
	v_lshlrev_b64 v[30:31], 2, v[50:51]
	v_mov_b32_e32 v34, v37
	v_add_co_u32_e64 v40, s[0:1], v0, v30
	v_mov_b32_e32 v6, v39
	v_addc_co_u32_e64 v41, s[0:1], v5, v31, s[0:1]
	v_lshlrev_b64 v[30:31], 2, v[33:34]
	v_mad_u64_u32 v[32:33], s[0:1], s21, v15, v[6:7]
	v_add_u32_e32 v15, 0x61d, v9
	v_mad_u64_u32 v[33:34], s[0:1], s20, v15, 0
	v_add_co_u32_e64 v42, s[0:1], v0, v30
	v_mov_b32_e32 v39, v32
	v_mov_b32_e32 v6, v34
	v_addc_co_u32_e64 v43, s[0:1], v5, v31, s[0:1]
	v_lshlrev_b64 v[30:31], 2, v[38:39]
	v_mad_u64_u32 v[37:38], s[0:1], s21, v15, v[6:7]
	v_add_co_u32_e64 v38, s[0:1], v0, v30
	v_mov_b32_e32 v34, v37
	v_addc_co_u32_e64 v39, s[0:1], v5, v31, s[0:1]
	v_lshlrev_b64 v[30:31], 2, v[33:34]
	v_add_co_u32_e64 v44, s[0:1], v0, v30
	v_addc_co_u32_e64 v45, s[0:1], v5, v31, s[0:1]
	global_load_dword v30, v[35:36], off
	global_load_dword v31, v[40:41], off
	;; [unrolled: 1-line block ×5, first 2 shown]
	s_waitcnt vmcnt(12)
	v_lshrrev_b32_e32 v15, 16, v47
	s_waitcnt vmcnt(11)
	v_lshrrev_b32_e32 v42, 16, v24
	s_waitcnt vmcnt(10)
	v_lshrrev_b32_e32 v40, 16, v22
	s_waitcnt vmcnt(9)
	v_lshrrev_b32_e32 v39, 16, v21
	s_waitcnt vmcnt(8)
	v_lshrrev_b32_e32 v38, 16, v20
	s_waitcnt vmcnt(7)
	v_lshrrev_b32_e32 v36, 16, v18
	s_waitcnt vmcnt(6)
	v_lshrrev_b32_e32 v35, 16, v17
	s_waitcnt vmcnt(5)
	v_lshrrev_b32_e32 v37, 16, v19
	s_waitcnt vmcnt(4)
	v_lshrrev_b32_e32 v41, 16, v30
	s_waitcnt vmcnt(3)
	v_lshrrev_b32_e32 v43, 16, v31
	s_waitcnt vmcnt(2)
	v_lshrrev_b32_e32 v44, 16, v32
	s_waitcnt vmcnt(1)
	v_lshrrev_b32_e32 v45, 16, v33
	s_waitcnt vmcnt(0)
	v_lshrrev_b32_e32 v46, 16, v34
.LBB0_14:
	s_or_b64 exec, exec, s[8:9]
	v_lshrrev_b32_e32 v48, 16, v29
	v_lshrrev_b32_e32 v49, 16, v7
	s_waitcnt vmcnt(10)
	v_lshrrev_b32_e32 v50, 16, v8
	s_waitcnt vmcnt(9)
	;; [unrolled: 2-line block ×11, first 2 shown]
	v_lshrrev_b32_e32 v61, 16, v28
.LBB0_15:
	s_or_b64 exec, exec, s[6:7]
	v_and_b32_e32 v0, 1, v11
	v_mov_b32_e32 v5, 0x659
	v_cmp_eq_u32_e64 s[0:1], 1, v0
	v_cndmask_b32_e64 v0, 0, v5, s[0:1]
	v_add_f16_e32 v5, v29, v7
	v_add_f16_e32 v5, v5, v8
	;; [unrolled: 1-line block ×12, first 2 shown]
	v_mad_u32_u24 v5, v9, 26, 0
	v_sub_f16_e32 v64, v49, v61
	v_lshl_add_u32 v56, v0, 1, v5
	s_mov_b32 s30, 0xba95b770
	v_add_f16_e32 v11, v28, v7
	v_sub_f16_e32 v65, v50, v60
	ds_write_b16 v56, v6
	s_mov_b32 s8, 0x388b3b15
	v_pk_mul_f16 v6, v64, s30 op_sel_hi:[0,1]
	s_mov_b32 s34, 0xbb7bba95
	v_add_f16_e32 v66, v27, v8
	v_sub_f16_e32 v68, v51, v59
	v_pk_fma_f16 v62, v11, s8, v6 op_sel_hi:[0,1,1]
	s_mov_b32 s15, 0xb5ac388b
	v_pk_mul_f16 v75, v65, s34 op_sel_hi:[0,1]
	s_mov_b32 s37, 0xb3a8bbf1
	v_add_f16_e32 v67, v26, v10
	v_sub_f16_e32 v70, v52, v58
	v_pk_add_f16 v62, v62, v29 op_sel_hi:[1,0]
	v_pk_fma_f16 v63, v66, s15, v75 op_sel_hi:[0,1,1]
	s_mov_b32 s18, 0xbbc42fb7
	v_pk_mul_f16 v76, v68, s37 op_sel_hi:[0,1]
	s_mov_b32 s40, 0x394ebb7b
	v_add_f16_e32 v69, v25, v12
	v_sub_f16_e32 v72, v53, v57
	v_pk_add_f16 v62, v62, v63
	v_pk_fma_f16 v63, v67, s18, v76 op_sel_hi:[0,1,1]
	s_mov_b32 s21, 0xb9fdb5ac
	v_pk_mul_f16 v77, v70, s40 op_sel_hi:[0,1]
	s_mov_b32 s43, 0x3bf1b94e
	v_add_f16_e32 v71, v23, v13
	v_sub_f16_e32 v74, v54, v55
	v_pk_add_f16 v62, v62, v63
	v_pk_fma_f16 v63, v69, s21, v77 op_sel_hi:[0,1,1]
	s_mov_b32 s24, 0x2fb7b9fd
	v_pk_mul_f16 v78, v72, s43 op_sel_hi:[0,1]
	s_mov_b32 s46, 0x3770b3a8
	v_add_f16_e32 v73, v16, v14
	v_pk_add_f16 v62, v62, v63
	v_pk_fma_f16 v63, v71, s24, v78 op_sel_hi:[0,1,1]
	s_mov_b32 s27, 0x3b15bbc4
	v_pk_mul_f16 v79, v74, s46 op_sel_hi:[0,1]
	s_mov_b32 s31, 0xbb7bbbf1
	v_pk_add_f16 v62, v62, v63
	v_pk_fma_f16 v63, v73, s27, v79 op_sel_hi:[0,1,1]
	s_mov_b32 s9, 0xb5ac2fb7
	v_pk_mul_f16 v80, v64, s31 op_sel_hi:[0,1]
	s_mov_b32 s35, 0x394eb3a8
	v_pk_add_f16 v62, v62, v63
	v_pk_fma_f16 v63, v11, s9, v80 op_sel_hi:[0,1,1]
	s_mov_b32 s16, 0xb9fdbbc4
	v_pk_mul_f16 v81, v65, s35 op_sel_hi:[0,1]
	v_pk_add_f16 v63, v63, v29 op_sel_hi:[1,0]
	v_pk_fma_f16 v82, v66, s16, v81 op_sel_hi:[0,1,1]
	s_mov_b32 s38, 0x37703b7b
	v_pk_add_f16 v63, v63, v82
	s_mov_b32 s19, 0x3b15b5ac
	v_pk_mul_f16 v82, v68, s38 op_sel_hi:[0,1]
	v_pk_fma_f16 v83, v67, s19, v82 op_sel_hi:[0,1,1]
	s_mov_b32 s41, 0xbbf13770
	v_pk_add_f16 v63, v63, v83
	s_mov_b32 s22, 0x2fb73b15
	v_pk_mul_f16 v83, v70, s41 op_sel_hi:[0,1]
	;; [unrolled: 5-line block ×5, first 2 shown]
	s_mov_b32 s36, 0x37703bf1
	v_pk_fma_f16 v64, v11, s14, v86 op_sel_hi:[0,1,1]
	s_mov_b32 s17, 0x3b152fb7
	v_pk_mul_f16 v65, v65, s36 op_sel_hi:[0,1]
	s_mov_b32 s39, 0xb94eba95
	v_pk_fma_f16 v86, v11, s14, v86 op_sel_hi:[0,1,1] neg_lo:[0,0,1] neg_hi:[0,0,1]
	v_pk_add_f16 v64, v64, v29 op_sel_hi:[1,0]
	v_pk_fma_f16 v87, v66, s17, v65 op_sel_hi:[0,1,1]
	s_mov_b32 s20, 0xb9fd388b
	v_pk_mul_f16 v68, v68, s39 op_sel_hi:[0,1]
	s_mov_b32 s42, 0x3a9533a8
	v_pk_add_f16 v86, v86, v29 op_sel_hi:[1,0]
	v_pk_fma_f16 v65, v66, s17, v65 op_sel_hi:[0,1,1] neg_lo:[0,0,1] neg_hi:[0,0,1]
	v_pk_add_f16 v64, v64, v87
	v_pk_fma_f16 v87, v67, s20, v68 op_sel_hi:[0,1,1]
	s_mov_b32 s23, 0x388bbbc4
	v_pk_mul_f16 v70, v70, s42 op_sel_hi:[0,1]
	s_mov_b32 s45, 0xbb7b3770
	v_pk_add_f16 v65, v86, v65
	v_pk_fma_f16 v68, v67, s20, v68 op_sel_hi:[0,1,1] neg_lo:[0,0,1] neg_hi:[0,0,1]
	s_mov_b32 s26, 0xb5ac3b15
	v_pk_mul_f16 v72, v72, s45 op_sel_hi:[0,1]
	s_mov_b32 s48, 0x3bf1bb7b
	v_pk_add_f16 v65, v65, v68
	v_pk_fma_f16 v68, v69, s23, v70 op_sel_hi:[0,1,1] neg_lo:[0,0,1] neg_hi:[0,0,1]
	v_pk_add_f16 v64, v64, v87
	v_pk_fma_f16 v87, v69, s23, v70 op_sel_hi:[0,1,1]
	s_mov_b32 s29, 0x2fb7b5ac
	v_pk_mul_f16 v74, v74, s48 op_sel_hi:[0,1]
	v_pk_add_f16 v65, v65, v68
	v_pk_fma_f16 v68, v71, s26, v72 op_sel_hi:[0,1,1] neg_lo:[0,0,1] neg_hi:[0,0,1]
	v_pk_add_f16 v64, v64, v87
	v_pk_fma_f16 v87, v71, s26, v72 op_sel_hi:[0,1,1]
	v_pk_add_f16 v65, v65, v68
	v_pk_fma_f16 v68, v73, s29, v74 op_sel_hi:[0,1,1] neg_lo:[0,0,1] neg_hi:[0,0,1]
	v_pk_add_f16 v64, v64, v87
	v_pk_fma_f16 v87, v73, s29, v74 op_sel_hi:[0,1,1]
	v_pk_add_f16 v65, v65, v68
	v_pk_add_f16 v64, v64, v87
	v_alignbit_b32 v65, v65, v65, 16
	ds_write_b128 v56, v[62:65] offset:2
	v_pk_fma_f16 v62, v11, s9, v80 op_sel_hi:[0,1,1] neg_lo:[0,0,1] neg_hi:[0,0,1]
	v_pk_fma_f16 v6, v11, s8, v6 op_sel_hi:[0,1,1] neg_lo:[0,0,1] neg_hi:[0,0,1]
	v_pk_add_f16 v62, v62, v29 op_sel_hi:[1,0]
	v_pk_fma_f16 v63, v66, s16, v81 op_sel_hi:[0,1,1] neg_lo:[0,0,1] neg_hi:[0,0,1]
	v_pk_add_f16 v6, v6, v29 op_sel_hi:[1,0]
	v_pk_fma_f16 v11, v66, s15, v75 op_sel_hi:[0,1,1] neg_lo:[0,0,1] neg_hi:[0,0,1]
	v_pk_add_f16 v62, v62, v63
	v_pk_fma_f16 v63, v67, s19, v82 op_sel_hi:[0,1,1] neg_lo:[0,0,1] neg_hi:[0,0,1]
	v_pk_add_f16 v6, v6, v11
	;; [unrolled: 2-line block ×9, first 2 shown]
	v_pk_add_f16 v6, v6, v11
	v_alignbit_b32 v62, v62, v62, 16
	v_alignbit_b32 v63, v6, v6, 16
	v_cmp_gt_u32_e64 s[0:1], 60, v9
	ds_write_b64 v56, v[62:63] offset:18
	s_and_saveexec_b64 s[6:7], s[0:1]
	s_cbranch_execz .LBB0_17
; %bb.16:
	v_add_f16_e32 v6, v47, v24
	v_add_f16_e32 v6, v6, v22
	;; [unrolled: 1-line block ×12, first 2 shown]
	v_sub_f16_e32 v29, v42, v46
	v_add_f16_e32 v11, v24, v34
	v_sub_f16_e32 v64, v40, v45
	ds_write_b16 v56, v6 offset:1690
	v_pk_mul_f16 v6, v29, s30 op_sel_hi:[0,1]
	v_add_f16_e32 v66, v22, v33
	v_sub_f16_e32 v65, v39, v44
	v_pk_mul_f16 v74, v64, s34 op_sel_hi:[0,1]
	v_pk_fma_f16 v62, v11, s8, v6 op_sel_hi:[0,1,1]
	v_add_f16_e32 v67, v21, v32
	v_sub_f16_e32 v69, v38, v43
	v_pk_mul_f16 v75, v65, s37 op_sel_hi:[0,1]
	v_pk_add_f16 v62, v47, v62 op_sel_hi:[0,1]
	v_pk_fma_f16 v63, v66, s15, v74 op_sel_hi:[0,1,1]
	v_add_f16_e32 v68, v20, v31
	v_sub_f16_e32 v71, v36, v41
	v_pk_mul_f16 v76, v69, s40 op_sel_hi:[0,1]
	v_pk_add_f16 v62, v62, v63
	v_pk_fma_f16 v63, v67, s18, v75 op_sel_hi:[0,1,1]
	v_add_f16_e32 v70, v18, v30
	v_sub_f16_e32 v73, v35, v37
	v_pk_mul_f16 v77, v71, s43 op_sel_hi:[0,1]
	v_pk_add_f16 v62, v62, v63
	v_pk_fma_f16 v63, v68, s21, v76 op_sel_hi:[0,1,1]
	v_add_f16_e32 v72, v17, v19
	v_pk_mul_f16 v78, v73, s46 op_sel_hi:[0,1]
	v_pk_add_f16 v62, v62, v63
	v_pk_fma_f16 v63, v70, s24, v77 op_sel_hi:[0,1,1]
	v_pk_add_f16 v62, v62, v63
	v_pk_fma_f16 v63, v72, s27, v78 op_sel_hi:[0,1,1]
	v_pk_mul_f16 v79, v29, s31 op_sel_hi:[0,1]
	v_pk_add_f16 v62, v62, v63
	v_pk_mul_f16 v80, v64, s35 op_sel_hi:[0,1]
	v_pk_fma_f16 v63, v11, s9, v79 op_sel_hi:[0,1,1]
	v_pk_mul_f16 v81, v65, s38 op_sel_hi:[0,1]
	v_pk_add_f16 v63, v47, v63 op_sel_hi:[0,1]
	v_pk_fma_f16 v85, v66, s16, v80 op_sel_hi:[0,1,1]
	v_pk_mul_f16 v82, v69, s41 op_sel_hi:[0,1]
	v_pk_add_f16 v63, v63, v85
	v_pk_fma_f16 v85, v67, s19, v81 op_sel_hi:[0,1,1]
	v_pk_mul_f16 v83, v71, s44 op_sel_hi:[0,1]
	v_pk_add_f16 v63, v63, v85
	;; [unrolled: 3-line block ×3, first 2 shown]
	v_pk_fma_f16 v85, v70, s25, v83 op_sel_hi:[0,1,1]
	v_pk_add_f16 v63, v63, v85
	v_pk_fma_f16 v85, v72, s28, v84 op_sel_hi:[0,1,1]
	v_pk_mul_f16 v29, v29, s33 op_sel_hi:[0,1]
	v_pk_add_f16 v63, v63, v85
	v_pk_mul_f16 v85, v64, s36 op_sel_hi:[0,1]
	v_pk_fma_f16 v64, v11, s14, v29 op_sel_hi:[0,1,1]
	v_pk_fma_f16 v29, v11, s14, v29 op_sel_hi:[0,1,1] neg_lo:[0,0,1] neg_hi:[0,0,1]
	v_pk_mul_f16 v65, v65, s39 op_sel_hi:[0,1]
	v_pk_add_f16 v64, v47, v64 op_sel_hi:[0,1]
	v_pk_fma_f16 v86, v66, s17, v85 op_sel_hi:[0,1,1]
	v_pk_add_f16 v29, v47, v29 op_sel_hi:[0,1]
	v_pk_fma_f16 v85, v66, s17, v85 op_sel_hi:[0,1,1] neg_lo:[0,0,1] neg_hi:[0,0,1]
	v_pk_mul_f16 v69, v69, s42 op_sel_hi:[0,1]
	v_pk_add_f16 v64, v64, v86
	v_pk_fma_f16 v86, v67, s20, v65 op_sel_hi:[0,1,1]
	v_pk_add_f16 v29, v29, v85
	v_pk_fma_f16 v65, v67, s20, v65 op_sel_hi:[0,1,1] neg_lo:[0,0,1] neg_hi:[0,0,1]
	v_pk_mul_f16 v71, v71, s45 op_sel_hi:[0,1]
	v_pk_add_f16 v29, v29, v65
	v_pk_fma_f16 v65, v68, s23, v69 op_sel_hi:[0,1,1] neg_lo:[0,0,1] neg_hi:[0,0,1]
	v_pk_mul_f16 v73, v73, s48 op_sel_hi:[0,1]
	v_pk_add_f16 v64, v64, v86
	v_pk_fma_f16 v86, v68, s23, v69 op_sel_hi:[0,1,1]
	v_pk_add_f16 v29, v29, v65
	v_pk_fma_f16 v65, v70, s26, v71 op_sel_hi:[0,1,1] neg_lo:[0,0,1] neg_hi:[0,0,1]
	v_pk_add_f16 v64, v64, v86
	v_pk_fma_f16 v86, v70, s26, v71 op_sel_hi:[0,1,1]
	v_pk_add_f16 v29, v29, v65
	v_pk_fma_f16 v65, v72, s29, v73 op_sel_hi:[0,1,1] neg_lo:[0,0,1] neg_hi:[0,0,1]
	v_pk_add_f16 v64, v64, v86
	v_pk_fma_f16 v86, v72, s29, v73 op_sel_hi:[0,1,1]
	v_pk_add_f16 v29, v29, v65
	v_pk_add_f16 v64, v64, v86
	v_alignbit_b32 v65, v29, v29, 16
	v_pk_fma_f16 v29, v11, s9, v79 op_sel_hi:[0,1,1] neg_lo:[0,0,1] neg_hi:[0,0,1]
	v_pk_fma_f16 v6, v11, s8, v6 op_sel_hi:[0,1,1] neg_lo:[0,0,1] neg_hi:[0,0,1]
	ds_write_b128 v56, v[62:65] offset:1692
	v_pk_add_f16 v29, v47, v29 op_sel_hi:[0,1]
	v_pk_fma_f16 v62, v66, s16, v80 op_sel_hi:[0,1,1] neg_lo:[0,0,1] neg_hi:[0,0,1]
	v_pk_add_f16 v6, v47, v6 op_sel_hi:[0,1]
	v_pk_fma_f16 v11, v66, s15, v74 op_sel_hi:[0,1,1] neg_lo:[0,0,1] neg_hi:[0,0,1]
	v_pk_add_f16 v29, v29, v62
	v_pk_fma_f16 v62, v67, s19, v81 op_sel_hi:[0,1,1] neg_lo:[0,0,1] neg_hi:[0,0,1]
	v_pk_add_f16 v6, v6, v11
	;; [unrolled: 2-line block ×9, first 2 shown]
	v_pk_add_f16 v6, v6, v11
	v_alignbit_b32 v62, v29, v29, 16
	v_alignbit_b32 v63, v6, v6, 16
	ds_write_b64 v56, v[62:63] offset:1708
.LBB0_17:
	s_or_b64 exec, exec, s[6:7]
	v_add_f16_e32 v6, v48, v49
	v_add_f16_e32 v6, v6, v50
	;; [unrolled: 1-line block ×11, first 2 shown]
	v_sub_f16_e32 v7, v7, v28
	v_add_f16_e32 v66, v61, v6
	v_add_f16_e32 v6, v61, v49
	v_sub_f16_e32 v8, v8, v27
	v_sub_f16_e32 v14, v14, v16
	v_pk_mul_f16 v16, v7, s30 op_sel_hi:[0,1]
	v_add_f16_e32 v11, v60, v50
	v_pk_fma_f16 v28, v6, s8, v16 op_sel_hi:[0,1,1] neg_lo:[0,0,1] neg_hi:[0,0,1]
	v_pk_mul_f16 v29, v8, s34 op_sel_hi:[0,1]
	v_sub_f16_e32 v10, v10, v26
	v_pk_add_f16 v28, v28, v48 op_sel_hi:[1,0]
	v_pk_fma_f16 v47, v11, s15, v29 op_sel_hi:[0,1,1] neg_lo:[0,0,1] neg_hi:[0,0,1]
	v_add_f16_e32 v27, v59, v51
	v_pk_add_f16 v28, v28, v47
	v_pk_mul_f16 v47, v10, s37 op_sel_hi:[0,1]
	v_sub_f16_e32 v12, v12, v25
	v_pk_fma_f16 v49, v27, s18, v47 op_sel_hi:[0,1,1] neg_lo:[0,0,1] neg_hi:[0,0,1]
	v_add_f16_e32 v26, v58, v52
	v_pk_add_f16 v28, v28, v49
	v_pk_mul_f16 v49, v12, s40 op_sel_hi:[0,1]
	v_sub_f16_e32 v13, v13, v23
	v_pk_fma_f16 v50, v26, s21, v49 op_sel_hi:[0,1,1] neg_lo:[0,0,1] neg_hi:[0,0,1]
	v_add_f16_e32 v25, v57, v53
	v_pk_add_f16 v28, v28, v50
	v_pk_mul_f16 v50, v13, s43 op_sel_hi:[0,1]
	v_pk_fma_f16 v51, v25, s24, v50 op_sel_hi:[0,1,1] neg_lo:[0,0,1] neg_hi:[0,0,1]
	v_add_f16_e32 v23, v55, v54
	v_pk_add_f16 v28, v28, v51
	v_pk_mul_f16 v51, v14, s46 op_sel_hi:[0,1]
	v_pk_fma_f16 v52, v23, s27, v51 op_sel_hi:[0,1,1] neg_lo:[0,0,1] neg_hi:[0,0,1]
	v_pk_fma_f16 v16, v6, s8, v16 op_sel_hi:[0,1,1]
	v_pk_add_f16 v63, v28, v52
	v_pk_add_f16 v16, v16, v48 op_sel_hi:[1,0]
	v_pk_fma_f16 v28, v11, s15, v29 op_sel_hi:[0,1,1]
	v_pk_add_f16 v16, v16, v28
	v_pk_fma_f16 v28, v27, s18, v47 op_sel_hi:[0,1,1]
	v_pk_add_f16 v16, v16, v28
	;; [unrolled: 2-line block ×5, first 2 shown]
	v_pk_mul_f16 v28, v7, s31 op_sel_hi:[0,1]
	v_pk_fma_f16 v29, v6, s9, v28 op_sel_hi:[0,1,1] neg_lo:[0,0,1] neg_hi:[0,0,1]
	v_pk_mul_f16 v47, v8, s35 op_sel_hi:[0,1]
	v_pk_add_f16 v29, v29, v48 op_sel_hi:[1,0]
	v_pk_fma_f16 v49, v11, s16, v47 op_sel_hi:[0,1,1] neg_lo:[0,0,1] neg_hi:[0,0,1]
	v_pk_add_f16 v29, v29, v49
	v_pk_mul_f16 v49, v10, s38 op_sel_hi:[0,1]
	v_pk_fma_f16 v50, v27, s19, v49 op_sel_hi:[0,1,1] neg_lo:[0,0,1] neg_hi:[0,0,1]
	v_pk_add_f16 v29, v29, v50
	v_pk_mul_f16 v50, v12, s41 op_sel_hi:[0,1]
	;; [unrolled: 3-line block ×4, first 2 shown]
	v_pk_fma_f16 v53, v23, s28, v52 op_sel_hi:[0,1,1] neg_lo:[0,0,1] neg_hi:[0,0,1]
	v_pk_fma_f16 v28, v6, s9, v28 op_sel_hi:[0,1,1]
	v_pk_add_f16 v64, v29, v53
	v_pk_add_f16 v28, v28, v48 op_sel_hi:[1,0]
	v_pk_fma_f16 v29, v11, s16, v47 op_sel_hi:[0,1,1]
	v_pk_add_f16 v28, v28, v29
	v_pk_fma_f16 v29, v27, s19, v49 op_sel_hi:[0,1,1]
	v_pk_add_f16 v28, v28, v29
	;; [unrolled: 2-line block ×4, first 2 shown]
	v_pk_fma_f16 v29, v23, s28, v52 op_sel_hi:[0,1,1]
	v_pk_mul_f16 v7, v7, s33 op_sel_hi:[0,1]
	v_pk_add_f16 v67, v28, v29
	v_pk_fma_f16 v28, v6, s14, v7 op_sel_hi:[0,1,1] neg_lo:[0,0,1] neg_hi:[0,0,1]
	v_pk_mul_f16 v8, v8, s36 op_sel_hi:[0,1]
	v_pk_fma_f16 v6, v6, s14, v7 op_sel_hi:[0,1,1]
	v_pk_mul_f16 v10, v10, s39 op_sel_hi:[0,1]
	v_pk_add_f16 v6, v6, v48 op_sel_hi:[1,0]
	v_pk_fma_f16 v7, v11, s17, v8 op_sel_hi:[0,1,1]
	v_pk_add_f16 v28, v28, v48 op_sel_hi:[1,0]
	v_pk_fma_f16 v29, v11, s17, v8 op_sel_hi:[0,1,1] neg_lo:[0,0,1] neg_hi:[0,0,1]
	v_pk_mul_f16 v12, v12, s42 op_sel_hi:[0,1]
	v_pk_add_f16 v6, v6, v7
	v_pk_fma_f16 v7, v27, s20, v10 op_sel_hi:[0,1,1]
	v_pk_add_f16 v28, v28, v29
	v_pk_fma_f16 v29, v27, s20, v10 op_sel_hi:[0,1,1] neg_lo:[0,0,1] neg_hi:[0,0,1]
	v_pk_mul_f16 v13, v13, s45 op_sel_hi:[0,1]
	v_pk_add_f16 v6, v6, v7
	v_pk_fma_f16 v7, v26, s23, v12 op_sel_hi:[0,1,1]
	v_pk_add_f16 v28, v28, v29
	;; [unrolled: 5-line block ×3, first 2 shown]
	v_pk_fma_f16 v29, v25, s26, v13 op_sel_hi:[0,1,1] neg_lo:[0,0,1] neg_hi:[0,0,1]
	v_pk_add_f16 v6, v6, v7
	v_pk_fma_f16 v7, v23, s29, v14 op_sel_hi:[0,1,1]
	v_pk_add_f16 v28, v28, v29
	v_pk_fma_f16 v29, v23, s29, v14 op_sel_hi:[0,1,1] neg_lo:[0,0,1] neg_hi:[0,0,1]
	v_pk_add_f16 v12, v6, v7
	v_lshlrev_b32_e32 v14, 1, v0
	v_mul_i32_i24_e32 v6, 0xffffffe8, v9
	v_lshlrev_b32_e32 v0, 1, v9
	v_add3_u32 v10, v5, v6, v14
	v_pk_add_f16 v65, v28, v29
	s_waitcnt lgkmcnt(0)
	s_barrier
	v_add3_u32 v0, 0, v14, v0
	ds_read_u16 v54, v10 offset:780
	ds_read_u16 v50, v10 offset:910
	ds_read_u16 v23, v0
	ds_read_u16 v8, v10 offset:130
	ds_read_u16 v7, v10 offset:260
	;; [unrolled: 1-line block ×22, first 2 shown]
	v_add_u32_e32 v11, 0x41, v9
	s_waitcnt lgkmcnt(0)
	s_barrier
	ds_write_b16 v56, v66
	v_alignbit_b32 v66, v12, v12, 16
	v_alignbit_b32 v12, v67, v67, 16
	;; [unrolled: 1-line block ×3, first 2 shown]
	ds_write_b128 v56, v[63:66] offset:2
	ds_write_b64 v56, v[12:13] offset:18
	s_and_saveexec_b64 s[6:7], s[0:1]
	s_cbranch_execz .LBB0_19
; %bb.18:
	v_add_f16_e32 v12, v15, v42
	v_add_f16_e32 v12, v12, v40
	;; [unrolled: 1-line block ×4, first 2 shown]
	v_sub_f16_e32 v24, v24, v34
	s_mov_b32 s1, 0xba95b770
	v_add_f16_e32 v12, v12, v36
	v_add_f16_e32 v13, v42, v46
	v_sub_f16_e32 v22, v22, v33
	v_sub_f16_e32 v19, v17, v19
	s_mov_b32 s0, 0x388b3b15
	v_pk_mul_f16 v17, v24, s1 op_sel_hi:[0,1]
	s_mov_b32 s8, 0xbb7bba95
	v_add_f16_e32 v12, v12, v35
	v_add_f16_e32 v34, v40, v45
	v_sub_f16_e32 v18, v18, v30
	v_add_f16_e32 v30, v35, v37
	v_pk_fma_f16 v16, v13, s0, v17 op_sel_hi:[0,1,1] neg_lo:[0,0,1] neg_hi:[0,0,1]
	s_mov_b32 s1, 0xb5ac388b
	v_pk_mul_f16 v35, v22, s8 op_sel_hi:[0,1]
	v_sub_f16_e32 v21, v21, v32
	v_sub_f16_e32 v20, v20, v31
	v_add_f16_e32 v31, v36, v41
	v_pk_add_f16 v16, v15, v16 op_sel_hi:[0,1]
	v_pk_fma_f16 v36, v34, s1, v35 op_sel_hi:[0,1,1] neg_lo:[0,0,1] neg_hi:[0,0,1]
	s_mov_b32 s9, 0xb3a8bbf1
	v_add_f16_e32 v33, v39, v44
	v_pk_add_f16 v16, v16, v36
	s_mov_b32 s8, 0xbbc42fb7
	v_pk_mul_f16 v36, v21, s9 op_sel_hi:[0,1]
	v_add_f16_e32 v12, v12, v37
	v_pk_fma_f16 v37, v33, s8, v36 op_sel_hi:[0,1,1] neg_lo:[0,0,1] neg_hi:[0,0,1]
	s_mov_b32 s14, 0x394ebb7b
	v_add_f16_e32 v32, v38, v43
	v_pk_add_f16 v16, v16, v37
	s_mov_b32 s9, 0xb9fdb5ac
	v_pk_mul_f16 v37, v20, s14 op_sel_hi:[0,1]
	v_pk_fma_f16 v17, v13, s0, v17 op_sel_hi:[0,1,1]
	v_pk_fma_f16 v38, v32, s9, v37 op_sel_hi:[0,1,1] neg_lo:[0,0,1] neg_hi:[0,0,1]
	s_mov_b32 s15, 0x3bf1b94e
	v_pk_add_f16 v17, v15, v17 op_sel_hi:[0,1]
	v_pk_fma_f16 v35, v34, s1, v35 op_sel_hi:[0,1,1]
	v_pk_add_f16 v16, v16, v38
	s_mov_b32 s14, 0x2fb7b9fd
	v_pk_mul_f16 v38, v18, s15 op_sel_hi:[0,1]
	v_pk_add_f16 v17, v17, v35
	v_pk_fma_f16 v35, v33, s8, v36 op_sel_hi:[0,1,1]
	v_pk_fma_f16 v39, v31, s14, v38 op_sel_hi:[0,1,1] neg_lo:[0,0,1] neg_hi:[0,0,1]
	s_mov_b32 s16, 0x3770b3a8
	v_pk_add_f16 v17, v17, v35
	v_pk_fma_f16 v35, v32, s9, v37 op_sel_hi:[0,1,1]
	v_pk_add_f16 v16, v16, v39
	s_mov_b32 s15, 0x3b15bbc4
	v_pk_mul_f16 v39, v19, s16 op_sel_hi:[0,1]
	v_pk_add_f16 v17, v17, v35
	v_pk_fma_f16 v35, v31, s14, v38 op_sel_hi:[0,1,1]
	s_mov_b32 s1, 0xbb7bbbf1
	v_pk_add_f16 v17, v17, v35
	v_pk_fma_f16 v35, v30, s15, v39 op_sel_hi:[0,1,1]
	s_mov_b32 s0, 0xb5ac2fb7
	v_pk_mul_f16 v36, v24, s1 op_sel_hi:[0,1]
	s_mov_b32 s8, 0x394eb3a8
	v_pk_add_f16 v35, v17, v35
	v_pk_fma_f16 v17, v13, s0, v36 op_sel_hi:[0,1,1] neg_lo:[0,0,1] neg_hi:[0,0,1]
	s_mov_b32 s1, 0xb9fdbbc4
	v_pk_mul_f16 v37, v22, s8 op_sel_hi:[0,1]
	v_pk_add_f16 v17, v15, v17 op_sel_hi:[0,1]
	v_pk_fma_f16 v38, v34, s1, v37 op_sel_hi:[0,1,1] neg_lo:[0,0,1] neg_hi:[0,0,1]
	s_mov_b32 s9, 0x37703b7b
	v_pk_add_f16 v17, v17, v38
	s_mov_b32 s8, 0x3b15b5ac
	v_pk_mul_f16 v38, v21, s9 op_sel_hi:[0,1]
	v_pk_fma_f16 v40, v30, s15, v39 op_sel_hi:[0,1,1] neg_lo:[0,0,1] neg_hi:[0,0,1]
	v_pk_fma_f16 v39, v33, s8, v38 op_sel_hi:[0,1,1] neg_lo:[0,0,1] neg_hi:[0,0,1]
	s_mov_b32 s14, 0xbbf13770
	v_pk_add_f16 v17, v17, v39
	s_mov_b32 s9, 0x2fb73b15
	v_pk_mul_f16 v39, v20, s14 op_sel_hi:[0,1]
	v_pk_fma_f16 v36, v13, s0, v36 op_sel_hi:[0,1,1]
	v_pk_add_f16 v16, v16, v40
	v_pk_fma_f16 v40, v32, s9, v39 op_sel_hi:[0,1,1] neg_lo:[0,0,1] neg_hi:[0,0,1]
	s_mov_b32 s15, 0x33a8ba95
	v_pk_add_f16 v36, v15, v36 op_sel_hi:[0,1]
	v_pk_fma_f16 v37, v34, s1, v37 op_sel_hi:[0,1,1]
	v_pk_add_f16 v17, v17, v40
	s_mov_b32 s14, 0xbbc4388b
	v_pk_mul_f16 v40, v18, s15 op_sel_hi:[0,1]
	v_pk_add_f16 v36, v36, v37
	v_pk_fma_f16 v37, v33, s8, v38 op_sel_hi:[0,1,1]
	v_add_f16_e32 v12, v41, v12
	v_pk_fma_f16 v41, v31, s14, v40 op_sel_hi:[0,1,1] neg_lo:[0,0,1] neg_hi:[0,0,1]
	s_mov_b32 s16, 0x3a95b94e
	v_pk_add_f16 v36, v36, v37
	v_pk_fma_f16 v37, v32, s9, v39 op_sel_hi:[0,1,1]
	v_pk_add_f16 v17, v17, v41
	s_mov_b32 s15, 0x388bb9fd
	v_pk_mul_f16 v41, v19, s16 op_sel_hi:[0,1]
	v_pk_add_f16 v36, v36, v37
	v_pk_fma_f16 v37, v31, s14, v40 op_sel_hi:[0,1,1]
	s_mov_b32 s1, 0xb3a8b94e
	v_pk_add_f16 v36, v36, v37
	v_pk_fma_f16 v37, v30, s15, v41 op_sel_hi:[0,1,1]
	s_mov_b32 s0, 0xbbc4b9fd
	v_pk_mul_f16 v24, v24, s1 op_sel_hi:[0,1]
	s_mov_b32 s8, 0x37703bf1
	v_pk_add_f16 v36, v36, v37
	v_pk_fma_f16 v37, v13, s0, v24 op_sel_hi:[0,1,1] neg_lo:[0,0,1] neg_hi:[0,0,1]
	s_mov_b32 s1, 0x3b152fb7
	v_pk_mul_f16 v22, v22, s8 op_sel_hi:[0,1]
	s_mov_b32 s9, 0xb94eba95
	v_pk_add_f16 v37, v15, v37 op_sel_hi:[0,1]
	v_pk_fma_f16 v38, v34, s1, v22 op_sel_hi:[0,1,1] neg_lo:[0,0,1] neg_hi:[0,0,1]
	s_mov_b32 s8, 0xb9fd388b
	v_pk_mul_f16 v21, v21, s9 op_sel_hi:[0,1]
	s_mov_b32 s14, 0x3a9533a8
	v_pk_fma_f16 v13, v13, s0, v24 op_sel_hi:[0,1,1]
	v_pk_add_f16 v37, v37, v38
	v_pk_fma_f16 v38, v33, s8, v21 op_sel_hi:[0,1,1] neg_lo:[0,0,1] neg_hi:[0,0,1]
	s_mov_b32 s9, 0x388bbbc4
	v_pk_mul_f16 v20, v20, s14 op_sel_hi:[0,1]
	v_pk_add_f16 v13, v15, v13 op_sel_hi:[0,1]
	v_pk_fma_f16 v15, v34, s1, v22 op_sel_hi:[0,1,1]
	v_pk_fma_f16 v42, v30, s15, v41 op_sel_hi:[0,1,1] neg_lo:[0,0,1] neg_hi:[0,0,1]
	v_pk_add_f16 v37, v37, v38
	v_pk_fma_f16 v38, v32, s9, v20 op_sel_hi:[0,1,1] neg_lo:[0,0,1] neg_hi:[0,0,1]
	s_mov_b32 s15, 0xbb7b3770
	v_pk_add_f16 v13, v13, v15
	v_pk_fma_f16 v15, v33, s8, v21 op_sel_hi:[0,1,1]
	v_pk_add_f16 v37, v37, v38
	s_mov_b32 s14, 0xb5ac3b15
	v_pk_mul_f16 v38, v18, s15 op_sel_hi:[0,1]
	s_mov_b32 s16, 0x3bf1bb7b
	v_pk_add_f16 v13, v13, v15
	v_pk_fma_f16 v15, v32, s9, v20 op_sel_hi:[0,1,1]
	v_add_f16_e32 v12, v43, v12
	s_mov_b32 s15, 0x2fb7b5ac
	v_pk_mul_f16 v19, v19, s16 op_sel_hi:[0,1]
	v_pk_add_f16 v13, v13, v15
	v_pk_fma_f16 v15, v31, s14, v38 op_sel_hi:[0,1,1]
	v_add_f16_e32 v12, v44, v12
	v_pk_add_f16 v13, v13, v15
	v_pk_fma_f16 v15, v30, s15, v19 op_sel_hi:[0,1,1]
	v_add_f16_e32 v12, v45, v12
	v_pk_fma_f16 v18, v31, s14, v38 op_sel_hi:[0,1,1] neg_lo:[0,0,1] neg_hi:[0,0,1]
	v_pk_add_f16 v13, v13, v15
	v_mul_u32_u24_e32 v15, 26, v11
	v_add_f16_e32 v12, v46, v12
	v_pk_add_f16 v18, v37, v18
	v_pk_fma_f16 v37, v30, s15, v19 op_sel_hi:[0,1,1] neg_lo:[0,0,1] neg_hi:[0,0,1]
	v_add3_u32 v15, 0, v15, v14
	v_pk_add_f16 v17, v17, v42
	v_pk_add_f16 v18, v18, v37
	ds_write_b16 v15, v12
	v_alignbit_b32 v19, v13, v13, 16
	v_alignbit_b32 v12, v36, v36, 16
	;; [unrolled: 1-line block ×3, first 2 shown]
	ds_write_b128 v15, v[16:19] offset:2
	ds_write_b64 v15, v[12:13] offset:18
.LBB0_19:
	s_or_b64 exec, exec, s[6:7]
	s_movk_i32 s0, 0x4f
	v_mul_lo_u16_sdwa v12, v9, s0 dst_sel:DWORD dst_unused:UNUSED_PAD src0_sel:BYTE_0 src1_sel:DWORD
	v_lshrrev_b16_e32 v21, 10, v12
	v_mul_lo_u16_e32 v12, 13, v21
	v_sub_u16_e32 v22, v9, v12
	v_mov_b32_e32 v16, 4
	v_lshlrev_b32_sdwa v12, v16, v22 dst_sel:DWORD dst_unused:UNUSED_PAD src0_sel:DWORD src1_sel:BYTE_0
	s_waitcnt lgkmcnt(0)
	s_barrier
	global_load_dwordx4 v[17:20], v12, s[12:13]
	v_mul_lo_u16_sdwa v12, v11, s0 dst_sel:DWORD dst_unused:UNUSED_PAD src0_sel:BYTE_0 src1_sel:DWORD
	v_lshrrev_b16_e32 v24, 10, v12
	v_mul_lo_u16_e32 v12, 13, v24
	v_sub_u16_e32 v46, v11, v12
	v_lshlrev_b32_sdwa v12, v16, v46 dst_sel:DWORD dst_unused:UNUSED_PAD src0_sel:DWORD src1_sel:BYTE_0
	global_load_dwordx4 v[30:33], v12, s[12:13]
	v_add_u32_e32 v12, 0x82, v9
	v_mul_lo_u16_sdwa v13, v12, s0 dst_sel:DWORD dst_unused:UNUSED_PAD src0_sel:BYTE_0 src1_sel:DWORD
	v_lshrrev_b16_e32 v56, 10, v13
	v_mul_lo_u16_e32 v13, 13, v56
	v_sub_u16_e32 v63, v12, v13
	v_lshlrev_b32_sdwa v13, v16, v63 dst_sel:DWORD dst_unused:UNUSED_PAD src0_sel:DWORD src1_sel:BYTE_0
	global_load_dwordx4 v[34:37], v13, s[12:13]
	v_add_u32_e32 v13, 0xc3, v9
	s_movk_i32 s1, 0x4ec5
	v_mul_u32_u24_sdwa v38, v13, s1 dst_sel:DWORD dst_unused:UNUSED_PAD src0_sel:WORD_0 src1_sel:DWORD
	v_lshrrev_b32_e32 v64, 18, v38
	v_mul_lo_u16_e32 v38, 13, v64
	v_sub_u16_e32 v65, v13, v38
	v_lshlrev_b32_e32 v38, 4, v65
	global_load_dwordx4 v[38:41], v38, s[12:13]
	v_add_u32_e32 v15, 0x104, v9
	v_mul_u32_u24_sdwa v42, v15, s1 dst_sel:DWORD dst_unused:UNUSED_PAD src0_sel:WORD_0 src1_sel:DWORD
	v_lshrrev_b32_e32 v76, 18, v42
	v_mul_lo_u16_e32 v42, 13, v76
	v_sub_u16_e32 v77, v15, v42
	v_lshlrev_b32_e32 v42, 4, v77
	ds_read_u16 v66, v10 offset:780
	ds_read_u16 v67, v10 offset:910
	ds_read_u16 v68, v0
	ds_read_u16 v69, v10 offset:130
	ds_read_u16 v70, v10 offset:260
	;; [unrolled: 1-line block ×7, first 2 shown]
	global_load_dwordx4 v[42:45], v42, s[12:13]
	ds_read_u16 v78, v10 offset:2080
	ds_read_u16 v79, v10 offset:2210
	;; [unrolled: 1-line block ×15, first 2 shown]
	s_mov_b32 s7, 0xbb9c
	s_movk_i32 s9, 0x3b9c
	s_mov_b32 s8, 0xb8b4
	s_movk_i32 s14, 0x38b4
	s_movk_i32 s6, 0x34f2
	;; [unrolled: 1-line block ×3, first 2 shown]
	v_mad_u32_u24 v21, v21, s0, 0
	s_waitcnt vmcnt(0) lgkmcnt(0)
	s_barrier
	v_mul_f16_sdwa v95, v88, v18 dst_sel:DWORD dst_unused:UNUSED_PAD src0_sel:DWORD src1_sel:WORD_1
	v_mul_f16_sdwa v97, v86, v19 dst_sel:DWORD dst_unused:UNUSED_PAD src0_sel:DWORD src1_sel:WORD_1
	;; [unrolled: 1-line block ×8, first 2 shown]
	v_fma_f16 v54, v54, v30, v101
	v_fma_f16 v30, v66, v30, -v102
	v_mul_f16_sdwa v66, v78, v32 dst_sel:DWORD dst_unused:UNUSED_PAD src0_sel:DWORD src1_sel:WORD_1
	v_fma_f16 v66, v57, v32, v66
	v_mul_f16_sdwa v57, v57, v32 dst_sel:DWORD dst_unused:UNUSED_PAD src0_sel:DWORD src1_sel:WORD_1
	v_fma_f16 v32, v78, v32, -v57
	v_mul_f16_sdwa v57, v81, v33 dst_sel:DWORD dst_unused:UNUSED_PAD src0_sel:DWORD src1_sel:WORD_1
	v_fma_f16 v57, v55, v33, v57
	v_mul_f16_sdwa v55, v55, v33 dst_sel:DWORD dst_unused:UNUSED_PAD src0_sel:DWORD src1_sel:WORD_1
	;; [unrolled: 4-line block ×11, first 2 shown]
	v_mul_f16_sdwa v99, v90, v20 dst_sel:DWORD dst_unused:UNUSED_PAD src0_sel:DWORD src1_sel:WORD_1
	v_mul_f16_sdwa v100, v61, v20 dst_sel:DWORD dst_unused:UNUSED_PAD src0_sel:DWORD src1_sel:WORD_1
	v_fma_f16 v62, v62, v18, v95
	v_fma_f16 v59, v59, v19, v97
	v_fma_f16 v42, v89, v42, -v49
	v_mul_f16_sdwa v49, v87, v43 dst_sel:DWORD dst_unused:UNUSED_PAD src0_sel:DWORD src1_sel:WORD_1
	v_fma_f16 v60, v60, v17, v93
	v_fma_f16 v17, v84, v17, -v94
	v_fma_f16 v61, v61, v20, v99
	v_fma_f16 v20, v90, v20, -v100
	v_fma_f16 v49, v26, v43, v49
	v_mul_f16_sdwa v26, v26, v43 dst_sel:DWORD dst_unused:UNUSED_PAD src0_sel:DWORD src1_sel:WORD_1
	v_add_f16_e32 v67, v62, v59
	v_mul_f16_sdwa v103, v73, v31 dst_sel:DWORD dst_unused:UNUSED_PAD src0_sel:DWORD src1_sel:WORD_1
	v_mul_f16_sdwa v104, v58, v31 dst_sel:DWORD dst_unused:UNUSED_PAD src0_sel:DWORD src1_sel:WORD_1
	v_fma_f16 v18, v88, v18, -v96
	v_fma_f16 v19, v86, v19, -v98
	;; [unrolled: 1-line block ×3, first 2 shown]
	v_mul_f16_sdwa v43, v91, v44 dst_sel:DWORD dst_unused:UNUSED_PAD src0_sel:DWORD src1_sel:WORD_1
	v_fma_f16 v67, v67, -0.5, v23
	v_sub_f16_e32 v72, v17, v20
	v_fma_f16 v58, v58, v31, v103
	v_fma_f16 v31, v73, v31, -v104
	v_fma_f16 v43, v27, v44, v43
	v_mul_f16_sdwa v27, v27, v44 dst_sel:DWORD dst_unused:UNUSED_PAD src0_sel:DWORD src1_sel:WORD_1
	v_fma_f16 v73, v72, s7, v67
	v_sub_f16_e32 v74, v18, v19
	v_sub_f16_e32 v75, v60, v62
	;; [unrolled: 1-line block ×3, first 2 shown]
	v_fma_f16 v67, v72, s9, v67
	v_fma_f16 v27, v91, v44, -v27
	v_mul_f16_sdwa v44, v92, v45 dst_sel:DWORD dst_unused:UNUSED_PAD src0_sel:DWORD src1_sel:WORD_1
	v_fma_f16 v73, v74, s8, v73
	v_add_f16_e32 v75, v75, v78
	v_fma_f16 v67, v74, s14, v67
	v_fma_f16 v44, v25, v45, v44
	v_mul_f16_sdwa v25, v25, v45 dst_sel:DWORD dst_unused:UNUSED_PAD src0_sel:DWORD src1_sel:WORD_1
	v_fma_f16 v73, v75, s6, v73
	v_fma_f16 v67, v75, s6, v67
	v_add_f16_e32 v75, v60, v61
	v_fma_f16 v25, v92, v45, -v25
	v_add_f16_e32 v45, v23, v60
	v_fma_f16 v23, v75, -0.5, v23
	v_add_f16_e32 v45, v45, v62
	v_fma_f16 v75, v74, s9, v23
	v_sub_f16_e32 v78, v62, v60
	v_sub_f16_e32 v79, v59, v61
	v_fma_f16 v23, v74, s7, v23
	v_add_f16_e32 v74, v18, v19
	v_add_f16_e32 v45, v45, v59
	v_fma_f16 v75, v72, s8, v75
	v_add_f16_e32 v78, v78, v79
	v_fma_f16 v23, v72, s14, v23
	v_fma_f16 v74, v74, -0.5, v68
	v_sub_f16_e32 v60, v60, v61
	v_add_f16_e32 v45, v45, v61
	v_fma_f16 v75, v78, s6, v75
	v_fma_f16 v23, v78, s6, v23
	;; [unrolled: 1-line block ×3, first 2 shown]
	v_sub_f16_e32 v59, v62, v59
	v_sub_f16_e32 v62, v17, v18
	;; [unrolled: 1-line block ×3, first 2 shown]
	v_fma_f16 v74, v60, s7, v74
	v_fma_f16 v61, v59, s14, v61
	v_add_f16_e32 v62, v62, v78
	v_fma_f16 v74, v59, s8, v74
	v_add_f16_e32 v72, v68, v17
	v_fma_f16 v61, v62, s6, v61
	v_fma_f16 v62, v62, s6, v74
	v_add_f16_e32 v74, v17, v20
	v_add_f16_e32 v72, v72, v18
	v_fma_f16 v68, v74, -0.5, v68
	v_add_f16_e32 v72, v72, v19
	v_fma_f16 v74, v59, s7, v68
	v_sub_f16_e32 v17, v18, v17
	v_sub_f16_e32 v18, v19, v20
	v_fma_f16 v19, v59, s9, v68
	v_fma_f16 v74, v60, s14, v74
	v_add_f16_e32 v17, v17, v18
	v_fma_f16 v19, v60, s8, v19
	v_fma_f16 v18, v17, s6, v74
	;; [unrolled: 1-line block ×3, first 2 shown]
	v_add_f16_e32 v17, v8, v54
	v_add_f16_e32 v17, v17, v58
	;; [unrolled: 1-line block ×6, first 2 shown]
	v_fma_f16 v17, v17, -0.5, v8
	v_sub_f16_e32 v59, v30, v33
	v_fma_f16 v60, v59, s7, v17
	v_sub_f16_e32 v68, v31, v32
	v_sub_f16_e32 v74, v54, v58
	;; [unrolled: 1-line block ×3, first 2 shown]
	v_fma_f16 v17, v59, s9, v17
	v_fma_f16 v60, v68, s8, v60
	v_add_f16_e32 v74, v74, v78
	v_fma_f16 v17, v68, s14, v17
	v_fma_f16 v60, v74, s6, v60
	;; [unrolled: 1-line block ×3, first 2 shown]
	v_add_f16_e32 v17, v54, v57
	v_fma_f16 v8, v17, -0.5, v8
	v_fma_f16 v17, v68, s9, v8
	v_sub_f16_e32 v78, v58, v54
	v_sub_f16_e32 v79, v66, v57
	v_fma_f16 v17, v59, s8, v17
	v_add_f16_e32 v78, v78, v79
	v_fma_f16 v79, v78, s6, v17
	v_add_f16_e32 v17, v69, v30
	v_add_f16_e32 v17, v17, v31
	v_fma_f16 v8, v68, s7, v8
	v_add_f16_e32 v17, v17, v32
	v_fma_f16 v8, v59, s14, v8
	v_add_f16_e32 v59, v17, v33
	v_add_f16_e32 v17, v31, v32
	v_fma_f16 v17, v17, -0.5, v69
	v_sub_f16_e32 v54, v54, v57
	v_fma_f16 v57, v54, s9, v17
	v_sub_f16_e32 v58, v58, v66
	v_sub_f16_e32 v66, v30, v31
	;; [unrolled: 1-line block ×3, first 2 shown]
	v_fma_f16 v17, v54, s7, v17
	v_fma_f16 v57, v58, s14, v57
	v_add_f16_e32 v66, v66, v68
	v_fma_f16 v17, v58, s8, v17
	v_fma_f16 v57, v66, s6, v57
	;; [unrolled: 1-line block ×3, first 2 shown]
	v_add_f16_e32 v17, v30, v33
	v_fma_f16 v17, v17, -0.5, v69
	v_fma_f16 v68, v58, s7, v17
	v_sub_f16_e32 v30, v31, v30
	v_sub_f16_e32 v31, v32, v33
	v_fma_f16 v17, v58, s9, v17
	v_fma_f16 v68, v54, s14, v68
	v_add_f16_e32 v30, v30, v31
	v_fma_f16 v17, v54, s8, v17
	v_fma_f16 v31, v30, s6, v68
	;; [unrolled: 1-line block ×3, first 2 shown]
	v_add_f16_e32 v17, v7, v55
	v_add_f16_e32 v17, v17, v50
	;; [unrolled: 1-line block ×5, first 2 shown]
	v_fma_f16 v17, v17, -0.5, v7
	v_sub_f16_e32 v33, v34, v37
	v_fma_f16 v54, v33, s7, v17
	v_sub_f16_e32 v58, v35, v36
	v_sub_f16_e32 v68, v55, v50
	;; [unrolled: 1-line block ×3, first 2 shown]
	v_fma_f16 v17, v33, s9, v17
	v_fma_f16 v54, v58, s8, v54
	v_add_f16_e32 v68, v68, v69
	v_fma_f16 v17, v58, s14, v17
	v_fma_f16 v54, v68, s6, v54
	;; [unrolled: 1-line block ×3, first 2 shown]
	v_add_f16_e32 v17, v55, v52
	v_fma_f16 v7, v17, -0.5, v7
	v_fma_f16 v8, v78, s6, v8
	v_fma_f16 v17, v58, s9, v7
	v_sub_f16_e32 v69, v50, v55
	v_sub_f16_e32 v78, v53, v52
	v_fma_f16 v17, v33, s8, v17
	v_add_f16_e32 v69, v69, v78
	v_fma_f16 v78, v69, s6, v17
	v_add_f16_e32 v17, v70, v34
	v_add_f16_e32 v17, v17, v35
	v_fma_f16 v7, v58, s7, v7
	v_add_f16_e32 v17, v17, v36
	v_fma_f16 v7, v33, s14, v7
	v_add_f16_e32 v33, v17, v37
	v_add_f16_e32 v17, v35, v36
	v_fma_f16 v17, v17, -0.5, v70
	v_sub_f16_e32 v52, v55, v52
	v_fma_f16 v55, v52, s9, v17
	v_sub_f16_e32 v50, v50, v53
	v_fma_f16 v53, v50, s14, v55
	v_sub_f16_e32 v55, v34, v35
	v_sub_f16_e32 v58, v37, v36
	v_fma_f16 v17, v52, s7, v17
	v_add_f16_e32 v55, v55, v58
	v_fma_f16 v17, v50, s8, v17
	v_fma_f16 v53, v55, s6, v53
	;; [unrolled: 1-line block ×3, first 2 shown]
	v_add_f16_e32 v17, v34, v37
	v_fma_f16 v17, v17, -0.5, v70
	v_fma_f16 v58, v50, s7, v17
	v_sub_f16_e32 v34, v35, v34
	v_sub_f16_e32 v35, v36, v37
	v_fma_f16 v17, v50, s9, v17
	v_fma_f16 v58, v52, s14, v58
	v_add_f16_e32 v34, v34, v35
	v_fma_f16 v17, v52, s8, v17
	v_fma_f16 v35, v34, s6, v58
	;; [unrolled: 1-line block ×3, first 2 shown]
	v_add_f16_e32 v17, v6, v51
	v_add_f16_e32 v17, v17, v48
	;; [unrolled: 1-line block ×5, first 2 shown]
	v_fma_f16 v17, v17, -0.5, v6
	v_sub_f16_e32 v37, v38, v28
	v_fma_f16 v7, v69, s6, v7
	v_fma_f16 v50, v37, s7, v17
	v_sub_f16_e32 v52, v39, v29
	v_sub_f16_e32 v58, v51, v48
	;; [unrolled: 1-line block ×3, first 2 shown]
	v_fma_f16 v17, v37, s9, v17
	v_fma_f16 v50, v52, s8, v50
	v_add_f16_e32 v58, v58, v69
	v_fma_f16 v17, v52, s14, v17
	v_fma_f16 v50, v58, s6, v50
	;; [unrolled: 1-line block ×3, first 2 shown]
	v_add_f16_e32 v17, v51, v40
	v_fma_f16 v6, v17, -0.5, v6
	v_fma_f16 v17, v52, s9, v6
	v_sub_f16_e32 v69, v48, v51
	v_sub_f16_e32 v70, v47, v40
	v_fma_f16 v17, v37, s8, v17
	v_add_f16_e32 v69, v69, v70
	v_fma_f16 v70, v69, s6, v17
	v_add_f16_e32 v17, v71, v38
	v_add_f16_e32 v17, v17, v39
	v_fma_f16 v6, v52, s7, v6
	v_add_f16_e32 v17, v17, v29
	v_fma_f16 v6, v37, s14, v6
	v_add_f16_e32 v37, v17, v28
	v_add_f16_e32 v17, v39, v29
	v_fma_f16 v17, v17, -0.5, v71
	v_sub_f16_e32 v40, v51, v40
	v_fma_f16 v51, v40, s9, v17
	v_sub_f16_e32 v47, v48, v47
	v_fma_f16 v48, v47, s14, v51
	v_sub_f16_e32 v51, v38, v39
	v_sub_f16_e32 v52, v28, v29
	v_fma_f16 v17, v40, s7, v17
	v_add_f16_e32 v51, v51, v52
	v_fma_f16 v17, v47, s8, v17
	v_fma_f16 v48, v51, s6, v48
	v_fma_f16 v51, v51, s6, v17
	v_add_f16_e32 v17, v38, v28
	v_fma_f16 v17, v17, -0.5, v71
	v_fma_f16 v52, v47, s7, v17
	v_sub_f16_e32 v38, v39, v38
	v_sub_f16_e32 v28, v29, v28
	v_fma_f16 v17, v47, s9, v17
	v_fma_f16 v52, v40, s14, v52
	v_add_f16_e32 v28, v38, v28
	v_fma_f16 v17, v40, s8, v17
	v_fma_f16 v29, v28, s6, v52
	;; [unrolled: 1-line block ×3, first 2 shown]
	v_add_f16_e32 v17, v5, v41
	v_add_f16_e32 v17, v17, v49
	;; [unrolled: 1-line block ×5, first 2 shown]
	v_fma_f16 v17, v17, -0.5, v5
	v_sub_f16_e32 v39, v42, v25
	v_fma_f16 v6, v69, s6, v6
	v_fma_f16 v40, v39, s7, v17
	v_sub_f16_e32 v47, v26, v27
	v_sub_f16_e32 v52, v41, v49
	;; [unrolled: 1-line block ×3, first 2 shown]
	v_fma_f16 v17, v39, s9, v17
	v_fma_f16 v40, v47, s8, v40
	v_add_f16_e32 v52, v52, v69
	v_fma_f16 v17, v47, s14, v17
	v_fma_f16 v40, v52, s6, v40
	;; [unrolled: 1-line block ×3, first 2 shown]
	v_add_f16_e32 v17, v41, v44
	v_fma_f16 v5, v17, -0.5, v5
	v_fma_f16 v17, v47, s9, v5
	v_sub_f16_e32 v69, v49, v41
	v_sub_f16_e32 v71, v43, v44
	v_fma_f16 v17, v39, s8, v17
	v_add_f16_e32 v69, v69, v71
	v_fma_f16 v71, v69, s6, v17
	v_add_f16_e32 v17, v85, v42
	v_add_f16_e32 v17, v17, v26
	v_fma_f16 v5, v47, s7, v5
	v_add_f16_e32 v17, v17, v27
	v_fma_f16 v5, v39, s14, v5
	v_add_f16_e32 v39, v17, v25
	v_add_f16_e32 v17, v26, v27
	v_fma_f16 v17, v17, -0.5, v85
	v_sub_f16_e32 v41, v41, v44
	v_fma_f16 v44, v41, s9, v17
	v_sub_f16_e32 v43, v49, v43
	v_sub_f16_e32 v47, v42, v26
	;; [unrolled: 1-line block ×3, first 2 shown]
	v_fma_f16 v17, v41, s7, v17
	v_fma_f16 v44, v43, s14, v44
	v_add_f16_e32 v47, v47, v49
	v_fma_f16 v17, v43, s8, v17
	v_fma_f16 v44, v47, s6, v44
	;; [unrolled: 1-line block ×3, first 2 shown]
	v_add_f16_e32 v17, v42, v25
	v_fma_f16 v17, v17, -0.5, v85
	v_fma_f16 v49, v43, s7, v17
	v_sub_f16_e32 v26, v26, v42
	v_sub_f16_e32 v25, v27, v25
	v_fma_f16 v17, v43, s9, v17
	v_fma_f16 v49, v41, s14, v49
	v_add_f16_e32 v25, v26, v25
	v_fma_f16 v17, v41, s8, v17
	v_fma_f16 v26, v25, s6, v49
	;; [unrolled: 1-line block ×3, first 2 shown]
	v_mov_b32_e32 v17, 1
	v_lshlrev_b32_sdwa v22, v17, v22 dst_sel:DWORD dst_unused:UNUSED_PAD src0_sel:DWORD src1_sel:BYTE_0
	v_add3_u32 v21, v21, v22, v14
	ds_write_b16 v21, v45
	ds_write_b16 v21, v73 offset:26
	ds_write_b16 v21, v75 offset:52
	ds_write_b16 v21, v23 offset:78
	ds_write_b16 v21, v67 offset:104
	v_mad_u32_u24 v22, v24, s0, 0
	v_lshlrev_b32_sdwa v23, v17, v46 dst_sel:DWORD dst_unused:UNUSED_PAD src0_sel:DWORD src1_sel:BYTE_0
	v_add3_u32 v22, v22, v23, v14
	ds_write_b16 v22, v20
	ds_write_b16 v22, v60 offset:26
	ds_write_b16 v22, v79 offset:52
	ds_write_b16 v22, v8 offset:78
	ds_write_b16 v22, v74 offset:104
	v_mad_u32_u24 v8, v56, s0, 0
	;; [unrolled: 8-line block ×3, first 2 shown]
	v_lshlrev_b32_e32 v20, 1, v65
	v_add3_u32 v7, v7, v20, v14
	ds_write_b16 v7, v36
	ds_write_b16 v7, v50 offset:26
	ds_write_b16 v7, v70 offset:52
	;; [unrolled: 1-line block ×4, first 2 shown]
	v_mad_u32_u24 v6, v76, s0, 0
	v_lshlrev_b32_e32 v20, 1, v77
	v_fma_f16 v5, v69, s6, v5
	v_add3_u32 v6, v6, v20, v14
	ds_write_b16 v6, v38
	ds_write_b16 v6, v40 offset:26
	ds_write_b16 v6, v71 offset:52
	;; [unrolled: 1-line block ×4, first 2 shown]
	s_waitcnt lgkmcnt(0)
	s_barrier
	ds_read_u16 v36, v10 offset:780
	ds_read_u16 v38, v10 offset:910
	ds_read_u16 v40, v0
	ds_read_u16 v41, v10 offset:130
	ds_read_u16 v42, v10 offset:260
	;; [unrolled: 1-line block ×22, first 2 shown]
	s_waitcnt lgkmcnt(0)
	s_barrier
	ds_write_b16 v21, v72
	ds_write_b16 v21, v61 offset:26
	ds_write_b16 v21, v18 offset:52
	ds_write_b16 v21, v19 offset:78
	ds_write_b16 v21, v62 offset:104
	ds_write_b16 v22, v59
	ds_write_b16 v22, v57 offset:26
	ds_write_b16 v22, v31 offset:52
	ds_write_b16 v22, v30 offset:78
	ds_write_b16 v22, v66 offset:104
	;; [unrolled: 5-line block ×5, first 2 shown]
	v_lshlrev_b32_e32 v5, 2, v9
	v_mov_b32_e32 v6, 0
	v_lshlrev_b64 v[7:8], 2, v[5:6]
	v_mov_b32_e32 v5, s13
	v_add_co_u32_e64 v7, s[0:1], s12, v7
	v_addc_co_u32_e64 v8, s[0:1], v5, v8, s[0:1]
	s_waitcnt lgkmcnt(0)
	s_barrier
	global_load_dwordx4 v[18:21], v[7:8], off offset:208
	s_movk_i32 s0, 0xfd
	v_mul_lo_u16_sdwa v5, v12, s0 dst_sel:DWORD dst_unused:UNUSED_PAD src0_sel:BYTE_0 src1_sel:DWORD
	v_lshrrev_b16_e32 v5, 14, v5
	v_mul_lo_u16_e32 v5, 0x41, v5
	v_sub_u16_e32 v5, v12, v5
	v_lshlrev_b32_sdwa v16, v16, v5 dst_sel:DWORD dst_unused:UNUSED_PAD src0_sel:DWORD src1_sel:BYTE_0
	global_load_dwordx4 v[22:25], v16, s[12:13] offset:208
	s_movk_i32 s0, 0xfc1
	v_mul_u32_u24_sdwa v16, v13, s0 dst_sel:DWORD dst_unused:UNUSED_PAD src0_sel:WORD_0 src1_sel:DWORD
	v_lshrrev_b32_e32 v16, 18, v16
	v_mul_lo_u16_e32 v16, 0x41, v16
	v_sub_u16_e32 v16, v13, v16
	v_lshlrev_b32_e32 v26, 4, v16
	global_load_dwordx4 v[26:29], v26, s[12:13] offset:208
	v_mul_u32_u24_sdwa v30, v15, s0 dst_sel:DWORD dst_unused:UNUSED_PAD src0_sel:WORD_0 src1_sel:DWORD
	v_lshrrev_b32_e32 v30, 18, v30
	v_mul_lo_u16_e32 v30, 0x41, v30
	v_sub_u16_e32 v57, v15, v30
	v_lshlrev_b32_e32 v30, 4, v57
	ds_read_u16 v34, v10 offset:780
	ds_read_u16 v35, v10 offset:910
	ds_read_u16 v37, v0
	ds_read_u16 v39, v10 offset:130
	ds_read_u16 v44, v10 offset:260
	;; [unrolled: 1-line block ×7, first 2 shown]
	global_load_dwordx4 v[30:33], v30, s[12:13] offset:208
	ds_read_u16 v59, v10 offset:2080
	ds_read_u16 v61, v10 offset:2210
	;; [unrolled: 1-line block ×15, first 2 shown]
	v_lshlrev_b32_e32 v16, 1, v16
	s_waitcnt vmcnt(0) lgkmcnt(0)
	s_barrier
	v_lshlrev_b32_sdwa v5, v17, v5 dst_sel:DWORD dst_unused:UNUSED_PAD src0_sel:DWORD src1_sel:BYTE_0
	v_add3_u32 v5, 0, v5, v14
	v_mul_f16_sdwa v85, v76, v18 dst_sel:DWORD dst_unused:UNUSED_PAD src0_sel:DWORD src1_sel:WORD_1
	v_fma_f16 v85, v64, v18, v85
	v_mul_f16_sdwa v64, v64, v18 dst_sel:DWORD dst_unused:UNUSED_PAD src0_sel:DWORD src1_sel:WORD_1
	v_fma_f16 v64, v76, v18, -v64
	v_mul_f16_sdwa v76, v80, v19 dst_sel:DWORD dst_unused:UNUSED_PAD src0_sel:DWORD src1_sel:WORD_1
	v_fma_f16 v76, v69, v19, v76
	v_mul_f16_sdwa v69, v69, v19 dst_sel:DWORD dst_unused:UNUSED_PAD src0_sel:DWORD src1_sel:WORD_1
	v_fma_f16 v69, v80, v19, -v69
	;; [unrolled: 4-line block ×5, first 2 shown]
	v_mul_f16_sdwa v34, v51, v19 dst_sel:DWORD dst_unused:UNUSED_PAD src0_sel:DWORD src1_sel:WORD_1
	v_mul_f16_sdwa v36, v46, v19 dst_sel:DWORD dst_unused:UNUSED_PAD src0_sel:DWORD src1_sel:WORD_1
	v_fma_f16 v34, v46, v19, v34
	v_fma_f16 v19, v51, v19, -v36
	v_mul_f16_sdwa v36, v59, v20 dst_sel:DWORD dst_unused:UNUSED_PAD src0_sel:DWORD src1_sel:WORD_1
	v_mul_f16_sdwa v46, v52, v20 dst_sel:DWORD dst_unused:UNUSED_PAD src0_sel:DWORD src1_sel:WORD_1
	v_fma_f16 v36, v52, v20, v36
	v_fma_f16 v20, v59, v20, -v46
	;; [unrolled: 4-line block ×3, first 2 shown]
	v_mul_f16_sdwa v51, v35, v22 dst_sel:DWORD dst_unused:UNUSED_PAD src0_sel:DWORD src1_sel:WORD_1
	v_fma_f16 v51, v38, v22, v51
	v_mul_f16_sdwa v38, v38, v22 dst_sel:DWORD dst_unused:UNUSED_PAD src0_sel:DWORD src1_sel:WORD_1
	v_fma_f16 v22, v35, v22, -v38
	v_mul_f16_sdwa v35, v53, v23 dst_sel:DWORD dst_unused:UNUSED_PAD src0_sel:DWORD src1_sel:WORD_1
	v_mul_f16_sdwa v38, v49, v23 dst_sel:DWORD dst_unused:UNUSED_PAD src0_sel:DWORD src1_sel:WORD_1
	v_fma_f16 v35, v49, v23, v35
	v_fma_f16 v23, v53, v23, -v38
	v_mul_f16_sdwa v38, v61, v24 dst_sel:DWORD dst_unused:UNUSED_PAD src0_sel:DWORD src1_sel:WORD_1
	v_mul_f16_sdwa v49, v54, v24 dst_sel:DWORD dst_unused:UNUSED_PAD src0_sel:DWORD src1_sel:WORD_1
	v_fma_f16 v38, v54, v24, v38
	;; [unrolled: 4-line block ×3, first 2 shown]
	v_fma_f16 v25, v72, v25, -v52
	v_mul_f16_sdwa v52, v48, v26 dst_sel:DWORD dst_unused:UNUSED_PAD src0_sel:DWORD src1_sel:WORD_1
	v_fma_f16 v52, v45, v26, v52
	v_mul_f16_sdwa v45, v45, v26 dst_sel:DWORD dst_unused:UNUSED_PAD src0_sel:DWORD src1_sel:WORD_1
	v_fma_f16 v26, v48, v26, -v45
	v_mul_f16_sdwa v45, v55, v27 dst_sel:DWORD dst_unused:UNUSED_PAD src0_sel:DWORD src1_sel:WORD_1
	v_mul_f16_sdwa v48, v50, v27 dst_sel:DWORD dst_unused:UNUSED_PAD src0_sel:DWORD src1_sel:WORD_1
	v_fma_f16 v45, v50, v27, v45
	v_fma_f16 v27, v55, v27, -v48
	v_mul_f16_sdwa v48, v62, v28 dst_sel:DWORD dst_unused:UNUSED_PAD src0_sel:DWORD src1_sel:WORD_1
	v_mul_f16_sdwa v50, v56, v28 dst_sel:DWORD dst_unused:UNUSED_PAD src0_sel:DWORD src1_sel:WORD_1
	v_fma_f16 v48, v56, v28, v48
	v_fma_f16 v28, v62, v28, -v50
	v_mul_f16_sdwa v50, v75, v29 dst_sel:DWORD dst_unused:UNUSED_PAD src0_sel:DWORD src1_sel:WORD_1
	v_mul_f16_sdwa v53, v63, v29 dst_sel:DWORD dst_unused:UNUSED_PAD src0_sel:DWORD src1_sel:WORD_1
	v_add_f16_e32 v59, v76, v80
	v_fma_f16 v50, v63, v29, v50
	v_fma_f16 v29, v75, v29, -v53
	v_mul_f16_sdwa v53, v81, v30 dst_sel:DWORD dst_unused:UNUSED_PAD src0_sel:DWORD src1_sel:WORD_1
	v_mul_f16_sdwa v54, v70, v30 dst_sel:DWORD dst_unused:UNUSED_PAD src0_sel:DWORD src1_sel:WORD_1
	v_fma_f16 v59, v59, -0.5, v40
	v_sub_f16_e32 v60, v64, v71
	v_fma_f16 v53, v70, v30, v53
	v_fma_f16 v30, v81, v30, -v54
	v_mul_f16_sdwa v54, v79, v31 dst_sel:DWORD dst_unused:UNUSED_PAD src0_sel:DWORD src1_sel:WORD_1
	v_mul_f16_sdwa v55, v68, v31 dst_sel:DWORD dst_unused:UNUSED_PAD src0_sel:DWORD src1_sel:WORD_1
	v_fma_f16 v61, v60, s7, v59
	v_sub_f16_e32 v62, v69, v67
	v_sub_f16_e32 v63, v85, v76
	;; [unrolled: 1-line block ×3, first 2 shown]
	v_fma_f16 v59, v60, s9, v59
	v_fma_f16 v54, v68, v31, v54
	v_fma_f16 v31, v79, v31, -v55
	v_mul_f16_sdwa v55, v83, v32 dst_sel:DWORD dst_unused:UNUSED_PAD src0_sel:DWORD src1_sel:WORD_1
	v_mul_f16_sdwa v56, v73, v32 dst_sel:DWORD dst_unused:UNUSED_PAD src0_sel:DWORD src1_sel:WORD_1
	v_fma_f16 v61, v62, s8, v61
	v_add_f16_e32 v63, v63, v66
	v_fma_f16 v59, v62, s14, v59
	v_fma_f16 v55, v73, v32, v55
	v_fma_f16 v32, v83, v32, -v56
	v_mul_f16_sdwa v56, v84, v33 dst_sel:DWORD dst_unused:UNUSED_PAD src0_sel:DWORD src1_sel:WORD_1
	v_mul_f16_sdwa v58, v74, v33 dst_sel:DWORD dst_unused:UNUSED_PAD src0_sel:DWORD src1_sel:WORD_1
	v_fma_f16 v61, v63, s6, v61
	v_fma_f16 v59, v63, s6, v59
	v_add_f16_e32 v63, v85, v78
	v_fma_f16 v56, v74, v33, v56
	v_fma_f16 v33, v84, v33, -v58
	v_add_f16_e32 v58, v40, v85
	v_fma_f16 v40, v63, -0.5, v40
	v_fma_f16 v63, v62, s9, v40
	v_sub_f16_e32 v66, v76, v85
	v_sub_f16_e32 v68, v80, v78
	v_fma_f16 v40, v62, s7, v40
	v_fma_f16 v63, v60, s8, v63
	v_add_f16_e32 v66, v66, v68
	v_fma_f16 v40, v60, s14, v40
	v_add_f16_e32 v62, v69, v67
	v_fma_f16 v63, v66, s6, v63
	v_fma_f16 v40, v66, s6, v40
	v_fma_f16 v62, v62, -0.5, v37
	v_sub_f16_e32 v66, v85, v78
	v_fma_f16 v68, v66, s9, v62
	v_sub_f16_e32 v70, v76, v80
	v_sub_f16_e32 v72, v64, v69
	;; [unrolled: 1-line block ×3, first 2 shown]
	v_fma_f16 v62, v66, s7, v62
	v_fma_f16 v68, v70, s14, v68
	v_add_f16_e32 v72, v72, v73
	v_fma_f16 v62, v70, s8, v62
	v_fma_f16 v68, v72, s6, v68
	;; [unrolled: 1-line block ×3, first 2 shown]
	v_add_f16_e32 v72, v64, v71
	v_add_f16_e32 v60, v37, v64
	v_fma_f16 v37, v72, -0.5, v37
	v_add_f16_e32 v60, v60, v69
	v_fma_f16 v72, v70, s7, v37
	v_fma_f16 v37, v70, s9, v37
	v_add_f16_e32 v60, v60, v67
	v_fma_f16 v72, v66, s14, v72
	v_sub_f16_e32 v64, v69, v64
	v_sub_f16_e32 v67, v67, v71
	v_fma_f16 v37, v66, s8, v37
	v_add_f16_e32 v66, v34, v36
	v_add_f16_e32 v64, v64, v67
	v_fma_f16 v66, v66, -0.5, v41
	v_sub_f16_e32 v69, v18, v21
	v_add_f16_e32 v60, v60, v71
	v_fma_f16 v67, v64, s6, v72
	v_fma_f16 v70, v69, s7, v66
	v_sub_f16_e32 v71, v19, v20
	v_sub_f16_e32 v72, v82, v34
	;; [unrolled: 1-line block ×3, first 2 shown]
	v_fma_f16 v66, v69, s9, v66
	v_fma_f16 v70, v71, s8, v70
	v_add_f16_e32 v72, v72, v73
	v_fma_f16 v66, v71, s14, v66
	v_fma_f16 v64, v64, s6, v37
	v_add_f16_e32 v37, v41, v82
	;; [unrolled: 3-line block ×3, first 2 shown]
	v_add_f16_e32 v37, v37, v34
	v_fma_f16 v41, v72, -0.5, v41
	v_add_f16_e32 v37, v37, v36
	v_fma_f16 v72, v71, s9, v41
	v_sub_f16_e32 v73, v34, v82
	v_sub_f16_e32 v74, v36, v46
	v_fma_f16 v41, v71, s7, v41
	v_add_f16_e32 v71, v19, v20
	v_add_f16_e32 v37, v37, v46
	v_fma_f16 v72, v69, s8, v72
	v_add_f16_e32 v73, v73, v74
	v_fma_f16 v41, v69, s14, v41
	v_fma_f16 v71, v71, -0.5, v39
	v_sub_f16_e32 v46, v82, v46
	v_fma_f16 v72, v73, s6, v72
	v_fma_f16 v41, v73, s6, v41
	;; [unrolled: 1-line block ×3, first 2 shown]
	v_sub_f16_e32 v34, v34, v36
	v_fma_f16 v36, v34, s14, v73
	v_sub_f16_e32 v73, v18, v19
	v_sub_f16_e32 v74, v21, v20
	v_add_f16_e32 v73, v73, v74
	v_fma_f16 v74, v73, s6, v36
	v_fma_f16 v36, v46, s7, v71
	;; [unrolled: 1-line block ×3, first 2 shown]
	v_add_f16_e32 v69, v39, v18
	v_fma_f16 v71, v73, s6, v36
	v_add_f16_e32 v36, v18, v21
	v_add_f16_e32 v69, v69, v19
	v_fma_f16 v36, v36, -0.5, v39
	v_sub_f16_e32 v18, v19, v18
	v_sub_f16_e32 v19, v20, v21
	v_add_f16_e32 v18, v18, v19
	v_fma_f16 v19, v34, s9, v36
	v_fma_f16 v39, v34, s7, v36
	;; [unrolled: 1-line block ×5, first 2 shown]
	v_add_f16_e32 v19, v35, v38
	v_add_f16_e32 v69, v69, v20
	v_fma_f16 v19, v19, -0.5, v42
	v_sub_f16_e32 v20, v22, v25
	v_add_f16_e32 v69, v69, v21
	v_fma_f16 v73, v18, s6, v39
	v_fma_f16 v21, v20, s7, v19
	v_sub_f16_e32 v34, v23, v24
	v_sub_f16_e32 v36, v51, v35
	;; [unrolled: 1-line block ×3, first 2 shown]
	v_fma_f16 v19, v20, s9, v19
	v_fma_f16 v21, v34, s8, v21
	v_add_f16_e32 v36, v36, v39
	v_fma_f16 v19, v34, s14, v19
	v_fma_f16 v21, v36, s6, v21
	;; [unrolled: 1-line block ×3, first 2 shown]
	v_add_f16_e32 v36, v51, v49
	v_fma_f16 v36, v36, -0.5, v42
	v_fma_f16 v39, v34, s9, v36
	v_fma_f16 v34, v34, s7, v36
	;; [unrolled: 1-line block ×4, first 2 shown]
	v_add_f16_e32 v34, v44, v22
	v_add_f16_e32 v18, v42, v51
	v_sub_f16_e32 v42, v35, v51
	v_sub_f16_e32 v75, v38, v49
	v_add_f16_e32 v34, v34, v23
	v_add_f16_e32 v42, v42, v75
	;; [unrolled: 1-line block ×4, first 2 shown]
	v_fma_f16 v39, v42, s6, v39
	v_fma_f16 v20, v42, s6, v20
	v_add_f16_e32 v42, v34, v25
	v_add_f16_e32 v34, v23, v24
	;; [unrolled: 1-line block ×3, first 2 shown]
	v_fma_f16 v34, v34, -0.5, v44
	v_sub_f16_e32 v36, v51, v49
	v_add_f16_e32 v18, v18, v49
	v_fma_f16 v49, v36, s9, v34
	v_sub_f16_e32 v35, v35, v38
	v_fma_f16 v38, v35, s14, v49
	v_sub_f16_e32 v49, v22, v23
	v_sub_f16_e32 v51, v25, v24
	v_fma_f16 v34, v36, s7, v34
	v_add_f16_e32 v49, v49, v51
	v_fma_f16 v34, v35, s8, v34
	v_fma_f16 v51, v49, s6, v38
	;; [unrolled: 1-line block ×3, first 2 shown]
	v_add_f16_e32 v34, v22, v25
	v_fma_f16 v34, v34, -0.5, v44
	v_sub_f16_e32 v22, v23, v22
	v_sub_f16_e32 v23, v24, v25
	v_add_f16_e32 v22, v22, v23
	v_fma_f16 v23, v35, s9, v34
	v_fma_f16 v23, v36, s8, v23
	;; [unrolled: 1-line block ×4, first 2 shown]
	v_add_f16_e32 v23, v45, v48
	v_fma_f16 v38, v36, s14, v38
	v_fma_f16 v23, v23, -0.5, v43
	v_sub_f16_e32 v25, v26, v29
	v_fma_f16 v24, v22, s6, v38
	v_fma_f16 v34, v25, s7, v23
	v_sub_f16_e32 v35, v27, v28
	v_sub_f16_e32 v36, v52, v45
	;; [unrolled: 1-line block ×3, first 2 shown]
	v_fma_f16 v23, v25, s9, v23
	v_fma_f16 v34, v35, s8, v34
	v_add_f16_e32 v36, v36, v38
	v_fma_f16 v23, v35, s14, v23
	v_fma_f16 v34, v36, s6, v34
	;; [unrolled: 1-line block ×3, first 2 shown]
	v_add_f16_e32 v36, v52, v50
	v_fma_f16 v36, v36, -0.5, v43
	v_fma_f16 v38, v35, s9, v36
	v_fma_f16 v35, v35, s7, v36
	;; [unrolled: 1-line block ×4, first 2 shown]
	v_add_f16_e32 v35, v47, v26
	v_add_f16_e32 v22, v43, v52
	v_sub_f16_e32 v43, v45, v52
	v_sub_f16_e32 v75, v48, v50
	v_add_f16_e32 v35, v35, v27
	v_add_f16_e32 v43, v43, v75
	;; [unrolled: 1-line block ×4, first 2 shown]
	v_fma_f16 v38, v43, s6, v38
	v_fma_f16 v25, v43, s6, v25
	v_add_f16_e32 v43, v35, v29
	v_add_f16_e32 v35, v27, v28
	;; [unrolled: 1-line block ×3, first 2 shown]
	v_fma_f16 v35, v35, -0.5, v47
	v_sub_f16_e32 v36, v52, v50
	v_add_f16_e32 v22, v22, v50
	v_fma_f16 v50, v36, s9, v35
	v_sub_f16_e32 v45, v45, v48
	v_fma_f16 v48, v45, s14, v50
	v_sub_f16_e32 v50, v26, v27
	v_sub_f16_e32 v52, v29, v28
	v_fma_f16 v35, v36, s7, v35
	v_add_f16_e32 v50, v50, v52
	v_fma_f16 v35, v45, s8, v35
	v_fma_f16 v48, v50, s6, v48
	v_fma_f16 v50, v50, s6, v35
	v_add_f16_e32 v35, v26, v29
	v_fma_f16 v35, v35, -0.5, v47
	v_sub_f16_e32 v26, v27, v26
	v_sub_f16_e32 v27, v28, v29
	v_add_f16_e32 v26, v26, v27
	v_fma_f16 v27, v45, s9, v35
	v_fma_f16 v27, v36, s8, v27
	;; [unrolled: 1-line block ×4, first 2 shown]
	v_add_f16_e32 v27, v54, v55
	v_fma_f16 v27, v27, -0.5, v65
	v_sub_f16_e32 v28, v30, v33
	v_fma_f16 v47, v36, s14, v47
	v_fma_f16 v29, v28, s7, v27
	v_sub_f16_e32 v35, v31, v32
	v_sub_f16_e32 v36, v53, v54
	v_sub_f16_e32 v52, v56, v55
	v_fma_f16 v27, v28, s9, v27
	v_fma_f16 v29, v35, s8, v29
	v_add_f16_e32 v36, v36, v52
	v_fma_f16 v27, v35, s14, v27
	v_fma_f16 v29, v36, s6, v29
	;; [unrolled: 1-line block ×3, first 2 shown]
	v_add_f16_e32 v36, v53, v56
	v_fma_f16 v36, v36, -0.5, v65
	v_fma_f16 v52, v35, s9, v36
	v_fma_f16 v35, v35, s7, v36
	;; [unrolled: 1-line block ×4, first 2 shown]
	v_add_f16_e32 v35, v77, v30
	v_fma_f16 v47, v26, s6, v47
	v_add_f16_e32 v26, v65, v53
	v_sub_f16_e32 v65, v54, v53
	v_sub_f16_e32 v75, v55, v56
	v_add_f16_e32 v35, v35, v31
	v_add_f16_e32 v65, v65, v75
	;; [unrolled: 1-line block ×4, first 2 shown]
	v_fma_f16 v52, v65, s6, v52
	v_fma_f16 v28, v65, s6, v28
	v_add_f16_e32 v65, v35, v33
	v_add_f16_e32 v35, v31, v32
	;; [unrolled: 1-line block ×3, first 2 shown]
	v_fma_f16 v35, v35, -0.5, v77
	v_sub_f16_e32 v36, v53, v56
	v_add_f16_e32 v26, v26, v56
	v_fma_f16 v53, v36, s9, v35
	v_sub_f16_e32 v54, v54, v55
	v_sub_f16_e32 v55, v30, v31
	;; [unrolled: 1-line block ×3, first 2 shown]
	v_fma_f16 v35, v36, s7, v35
	v_add_f16_e32 v58, v58, v76
	v_fma_f16 v53, v54, s14, v53
	v_add_f16_e32 v55, v55, v56
	;; [unrolled: 2-line block ×3, first 2 shown]
	v_fma_f16 v53, v55, s6, v53
	v_fma_f16 v55, v55, s6, v35
	v_add_f16_e32 v35, v30, v33
	v_add_f16_e32 v58, v58, v78
	v_fma_f16 v35, v35, -0.5, v77
	v_sub_f16_e32 v30, v31, v30
	v_sub_f16_e32 v31, v32, v33
	v_fma_f16 v56, v54, s7, v35
	v_add_f16_e32 v30, v30, v31
	v_fma_f16 v31, v54, s9, v35
	ds_write_b16 v10, v58
	ds_write_b16 v10, v61 offset:130
	ds_write_b16 v10, v63 offset:260
	;; [unrolled: 1-line block ×9, first 2 shown]
	v_add3_u32 v40, 0, v16, v14
	v_lshlrev_b32_e32 v16, 1, v57
	v_fma_f16 v56, v36, s14, v56
	v_fma_f16 v31, v36, s8, v31
	v_add3_u32 v57, 0, v16, v14
	v_fma_f16 v56, v30, s6, v56
	v_fma_f16 v54, v30, s6, v31
	ds_write_b16 v5, v18 offset:1300
	ds_write_b16 v5, v21 offset:1430
	;; [unrolled: 1-line block ×15, first 2 shown]
	s_waitcnt lgkmcnt(0)
	s_barrier
	ds_read_u16 v27, v10 offset:780
	ds_read_u16 v34, v10 offset:910
	ds_read_u16 v14, v0
	ds_read_u16 v25, v10 offset:130
	ds_read_u16 v31, v10 offset:260
	;; [unrolled: 1-line block ×22, first 2 shown]
	s_waitcnt lgkmcnt(0)
	s_barrier
	ds_write_b16 v10, v60
	ds_write_b16 v10, v68 offset:130
	ds_write_b16 v10, v67 offset:260
	;; [unrolled: 1-line block ×24, first 2 shown]
	s_waitcnt lgkmcnt(0)
	s_barrier
	s_and_saveexec_b64 s[0:1], vcc
	s_cbranch_execz .LBB0_21
; %bb.20:
	v_lshlrev_b32_e32 v5, 2, v15
	v_lshlrev_b64 v[42:43], 2, v[5:6]
	v_mov_b32_e32 v44, s13
	v_add_co_u32_e32 v42, vcc, s12, v42
	v_addc_co_u32_e32 v43, vcc, v44, v43, vcc
	global_load_dwordx4 v[45:48], v[42:43], off offset:1248
	v_lshlrev_b32_e32 v5, 2, v13
	v_lshlrev_b64 v[42:43], 2, v[5:6]
	ds_read_u16 v40, v10 offset:3120
	ds_read_u16 v57, v10 offset:1950
	;; [unrolled: 1-line block ×20, first 2 shown]
	v_add_co_u32_e32 v42, vcc, s12, v42
	v_addc_co_u32_e32 v43, vcc, v44, v43, vcc
	global_load_dwordx4 v[49:52], v[7:8], off offset:1248
	global_load_dwordx4 v[53:56], v[42:43], off offset:1248
	v_mul_lo_u32 v15, s5, v3
	v_mul_lo_u32 v24, s4, v4
	v_mad_u64_u32 v[3:4], s[0:1], s4, v3, 0
	ds_read_u16 v76, v10 offset:260
	s_mov_b32 s0, 0xc9a633fd
	v_add3_u32 v4, v4, v24, v15
	v_lshlrev_b64 v[3:4], 2, v[3:4]
	s_movk_i32 s1, 0x659
	ds_read_u16 v0, v0
	s_waitcnt vmcnt(2)
	v_mul_f16_sdwa v5, v17, v46 dst_sel:DWORD dst_unused:UNUSED_PAD src0_sel:DWORD src1_sel:WORD_1
	v_mul_f16_sdwa v7, v16, v45 dst_sel:DWORD dst_unused:UNUSED_PAD src0_sel:DWORD src1_sel:WORD_1
	;; [unrolled: 1-line block ×4, first 2 shown]
	s_waitcnt lgkmcnt(14)
	v_mul_f16_sdwa v15, v58, v46 dst_sel:DWORD dst_unused:UNUSED_PAD src0_sel:DWORD src1_sel:WORD_1
	s_waitcnt lgkmcnt(8)
	v_mul_f16_sdwa v24, v69, v47 dst_sel:DWORD dst_unused:UNUSED_PAD src0_sel:DWORD src1_sel:WORD_1
	v_mul_f16_sdwa v42, v63, v45 dst_sel:DWORD dst_unused:UNUSED_PAD src0_sel:DWORD src1_sel:WORD_1
	;; [unrolled: 1-line block ×3, first 2 shown]
	v_fma_f16 v5, v58, v46, -v5
	v_fma_f16 v7, v63, v45, -v7
	;; [unrolled: 1-line block ×4, first 2 shown]
	v_fma_f16 v40, v17, v46, v15
	v_fma_f16 v46, v22, v47, v24
	;; [unrolled: 1-line block ×4, first 2 shown]
	v_sub_f16_e32 v13, v5, v7
	v_sub_f16_e32 v15, v58, v8
	v_add_f16_e32 v17, v7, v8
	v_sub_f16_e32 v16, v40, v46
	v_sub_f16_e32 v22, v7, v5
	;; [unrolled: 1-line block ×3, first 2 shown]
	v_add_f16_e32 v45, v5, v58
	s_waitcnt lgkmcnt(3)
	v_add_f16_e32 v47, v7, v74
	v_sub_f16_e32 v69, v7, v8
	v_add_f16_e32 v7, v42, v43
	v_add_f16_e32 v13, v13, v15
	v_fma_f16 v15, v17, -0.5, v74
	v_sub_f16_e32 v18, v42, v43
	v_sub_f16_e32 v48, v40, v42
	v_sub_f16_e32 v63, v46, v43
	v_add_f16_e32 v17, v22, v24
	v_fma_f16 v22, v45, -0.5, v74
	v_add_f16_e32 v24, v5, v47
	v_fma_f16 v47, v7, -0.5, v26
	v_fma_f16 v7, v16, s9, v15
	v_fma_f16 v15, v16, s7, v15
	v_add_f16_e32 v45, v48, v63
	v_fma_f16 v48, v18, s7, v22
	v_fma_f16 v22, v18, s9, v22
	;; [unrolled: 1-line block ×3, first 2 shown]
	v_sub_f16_e32 v5, v5, v58
	v_fma_f16 v7, v18, s8, v7
	v_fma_f16 v18, v16, s8, v48
	;; [unrolled: 1-line block ×5, first 2 shown]
	v_add_f16_e32 v24, v58, v24
	v_fma_f16 v15, v69, s8, v15
	v_add_f16_e32 v22, v8, v24
	v_fma_f16 v8, v13, s6, v7
	v_fma_f16 v7, v17, s6, v18
	;; [unrolled: 1-line block ×5, first 2 shown]
	v_sub_f16_e32 v15, v42, v40
	v_sub_f16_e32 v24, v43, v46
	v_fma_f16 v13, v69, s14, v13
	v_add_f16_e32 v24, v15, v24
	v_add_f16_e32 v15, v40, v46
	v_fma_f16 v13, v45, s6, v13
	v_fma_f16 v45, v15, -0.5, v26
	v_fma_f16 v15, v69, s9, v45
	v_fma_f16 v45, v69, s7, v45
	;; [unrolled: 1-line block ×6, first 2 shown]
	v_add_f16_e32 v5, v26, v42
	v_add_f16_e32 v5, v40, v5
	;; [unrolled: 1-line block ×4, first 2 shown]
	v_lshlrev_b32_e32 v5, 2, v12
	v_lshlrev_b64 v[42:43], 2, v[5:6]
	s_waitcnt vmcnt(0)
	v_mul_f16_sdwa v40, v39, v56 dst_sel:DWORD dst_unused:UNUSED_PAD src0_sel:DWORD src1_sel:WORD_1
	v_mul_f16_sdwa v5, v35, v53 dst_sel:DWORD dst_unused:UNUSED_PAD src0_sel:DWORD src1_sel:WORD_1
	;; [unrolled: 1-line block ×3, first 2 shown]
	v_fma_f16 v63, v65, v56, -v40
	v_mul_f16_sdwa v40, v33, v55 dst_sel:DWORD dst_unused:UNUSED_PAD src0_sel:DWORD src1_sel:WORD_1
	v_add_co_u32_e32 v42, vcc, s12, v42
	v_fma_f16 v5, v64, v53, -v5
	v_fma_f16 v58, v59, v54, -v12
	;; [unrolled: 1-line block ×3, first 2 shown]
	v_addc_co_u32_e32 v43, vcc, v44, v43, vcc
	v_sub_f16_e32 v12, v5, v58
	v_sub_f16_e32 v40, v63, v74
	global_load_dwordx4 v[45:48], v[42:43], off offset:1248
	v_add_f16_e32 v42, v12, v40
	v_add_f16_e32 v12, v58, v74
	s_waitcnt lgkmcnt(2)
	v_fma_f16 v43, v12, -0.5, v75
	v_mul_f16_sdwa v12, v64, v53 dst_sel:DWORD dst_unused:UNUSED_PAD src0_sel:DWORD src1_sel:WORD_1
	v_fma_f16 v64, v35, v53, v12
	v_mul_f16_sdwa v35, v59, v54 dst_sel:DWORD dst_unused:UNUSED_PAD src0_sel:DWORD src1_sel:WORD_1
	v_mul_f16_sdwa v12, v65, v56 dst_sel:DWORD dst_unused:UNUSED_PAD src0_sel:DWORD src1_sel:WORD_1
	v_fma_f16 v59, v32, v54, v35
	v_mul_f16_sdwa v32, v70, v55 dst_sel:DWORD dst_unused:UNUSED_PAD src0_sel:DWORD src1_sel:WORD_1
	v_fma_f16 v65, v39, v56, v12
	v_fma_f16 v70, v33, v55, v32
	v_sub_f16_e32 v32, v64, v59
	v_sub_f16_e32 v33, v65, v70
	v_add_f16_e32 v55, v32, v33
	v_sub_f16_e32 v33, v58, v5
	v_sub_f16_e32 v35, v74, v63
	;; [unrolled: 1-line block ×3, first 2 shown]
	v_add_f16_e32 v39, v33, v35
	v_add_f16_e32 v33, v5, v63
	;; [unrolled: 1-line block ×4, first 2 shown]
	v_sub_f16_e32 v53, v64, v65
	v_sub_f16_e32 v78, v58, v74
	v_add_f16_e32 v58, v74, v5
	v_lshlrev_b32_e32 v5, 2, v11
	v_fma_f16 v12, v53, s7, v43
	v_sub_f16_e32 v54, v59, v70
	v_add_f16_e32 v32, v59, v70
	v_fma_f16 v43, v53, s9, v43
	v_lshlrev_b64 v[5:6], 2, v[5:6]
	v_fma_f16 v12, v54, s8, v12
	v_fma_f16 v56, v32, -0.5, v41
	v_fma_f16 v43, v54, s14, v43
	v_fma_f16 v12, v42, s6, v12
	;; [unrolled: 1-line block ×3, first 2 shown]
	v_fma_f16 v40, v33, -0.5, v75
	v_fma_f16 v42, v42, s6, v43
	v_fma_f16 v43, v77, s7, v56
	v_add_co_u32_e32 v5, vcc, s12, v5
	v_fma_f16 v32, v78, s14, v32
	v_fma_f16 v33, v54, s9, v40
	;; [unrolled: 1-line block ×4, first 2 shown]
	v_addc_co_u32_e32 v6, vcc, v44, v6, vcc
	v_fma_f16 v32, v55, s6, v32
	v_fma_f16 v33, v53, s8, v33
	;; [unrolled: 1-line block ×4, first 2 shown]
	global_load_dwordx4 v[53:56], v[5:6], off offset:1248
	ds_read_u16 v69, v10 offset:2210
	v_sub_f16_e32 v35, v59, v64
	v_sub_f16_e32 v79, v70, v65
	v_add_f16_e32 v6, v41, v64
	v_add_f16_e32 v79, v35, v79
	;; [unrolled: 1-line block ×4, first 2 shown]
	v_fma_f16 v80, v35, -0.5, v41
	v_add_f16_e32 v5, v63, v58
	ds_read_u16 v63, v10 offset:2080
	v_add_f16_e32 v6, v6, v70
	v_add_f16_e32 v6, v65, v6
	v_fma_f16 v33, v39, s6, v33
	v_fma_f16 v35, v78, s7, v80
	;; [unrolled: 1-line block ×6, first 2 shown]
	ds_read_u16 v10, v10 offset:130
	v_fma_f16 v40, v79, s6, v40
	v_fma_f16 v35, v79, s6, v35
	s_waitcnt vmcnt(1)
	v_mul_f16_sdwa v11, v34, v45 dst_sel:DWORD dst_unused:UNUSED_PAD src0_sel:DWORD src1_sel:WORD_1
	v_mul_f16_sdwa v41, v36, v46 dst_sel:DWORD dst_unused:UNUSED_PAD src0_sel:DWORD src1_sel:WORD_1
	;; [unrolled: 1-line block ×4, first 2 shown]
	v_fma_f16 v11, v71, v45, -v11
	v_fma_f16 v41, v60, v46, -v41
	;; [unrolled: 1-line block ×3, first 2 shown]
	s_waitcnt lgkmcnt(2)
	v_fma_f16 v59, v69, v47, -v59
	v_mul_f16_sdwa v65, v71, v45 dst_sel:DWORD dst_unused:UNUSED_PAD src0_sel:DWORD src1_sel:WORD_1
	v_mul_f16_sdwa v60, v60, v46 dst_sel:DWORD dst_unused:UNUSED_PAD src0_sel:DWORD src1_sel:WORD_1
	v_sub_f16_e32 v44, v11, v41
	v_sub_f16_e32 v64, v58, v59
	v_fma_f16 v34, v34, v45, v65
	v_mul_f16_sdwa v45, v66, v48 dst_sel:DWORD dst_unused:UNUSED_PAD src0_sel:DWORD src1_sel:WORD_1
	v_fma_f16 v36, v36, v46, v60
	v_mul_f16_sdwa v46, v69, v47 dst_sel:DWORD dst_unused:UNUSED_PAD src0_sel:DWORD src1_sel:WORD_1
	v_add_f16_e32 v44, v44, v64
	v_add_f16_e32 v64, v41, v59
	v_fma_f16 v38, v38, v48, v45
	v_fma_f16 v37, v37, v47, v46
	v_sub_f16_e32 v70, v41, v11
	v_sub_f16_e32 v71, v59, v58
	v_fma_f16 v64, v64, -0.5, v76
	v_sub_f16_e32 v45, v34, v38
	v_sub_f16_e32 v65, v11, v58
	v_add_f16_e32 v70, v70, v71
	v_add_f16_e32 v71, v11, v58
	v_sub_f16_e32 v75, v36, v34
	v_sub_f16_e32 v77, v37, v38
	v_add_f16_e32 v11, v11, v76
	v_fma_f16 v48, v45, s7, v64
	v_sub_f16_e32 v46, v36, v37
	v_fma_f16 v71, v71, -0.5, v76
	v_add_f16_e32 v75, v75, v77
	v_add_f16_e32 v77, v34, v38
	;; [unrolled: 1-line block ×3, first 2 shown]
	v_fma_f16 v47, v46, s8, v48
	v_sub_f16_e32 v48, v34, v36
	v_sub_f16_e32 v60, v38, v37
	;; [unrolled: 1-line block ×3, first 2 shown]
	v_fma_f16 v74, v46, s9, v71
	v_fma_f16 v77, v77, -0.5, v31
	v_fma_f16 v71, v46, s7, v71
	v_add_f16_e32 v11, v59, v11
	v_add_f16_e32 v48, v48, v60
	;; [unrolled: 1-line block ×3, first 2 shown]
	v_fma_f16 v74, v45, s8, v74
	v_fma_f16 v71, v45, s14, v71
	v_fma_f16 v45, v45, s9, v64
	v_add_f16_e32 v41, v58, v11
	v_fma_f16 v11, v69, s9, v77
	v_fma_f16 v60, v60, -0.5, v31
	v_fma_f16 v45, v46, s14, v45
	v_fma_f16 v11, v65, s8, v11
	;; [unrolled: 1-line block ×8, first 2 shown]
	v_add_f16_e32 v11, v31, v34
	v_add_f16_e32 v11, v11, v36
	;; [unrolled: 1-line block ×3, first 2 shown]
	v_fma_f16 v66, v65, s9, v60
	v_add_f16_e32 v31, v38, v11
	s_waitcnt vmcnt(0)
	v_mul_f16_sdwa v11, v27, v53 dst_sel:DWORD dst_unused:UNUSED_PAD src0_sel:DWORD src1_sel:WORD_1
	v_mul_f16_sdwa v34, v29, v54 dst_sel:DWORD dst_unused:UNUSED_PAD src0_sel:DWORD src1_sel:WORD_1
	;; [unrolled: 1-line block ×4, first 2 shown]
	v_fma_f16 v66, v69, s14, v66
	v_fma_f16 v11, v72, v53, -v11
	v_fma_f16 v34, v61, v54, -v34
	;; [unrolled: 1-line block ×3, first 2 shown]
	s_waitcnt lgkmcnt(1)
	v_fma_f16 v38, v63, v55, -v38
	v_fma_f16 v66, v48, s6, v66
	v_sub_f16_e32 v36, v11, v34
	v_sub_f16_e32 v48, v37, v38
	v_add_f16_e32 v36, v36, v48
	v_mul_f16_sdwa v48, v61, v54 dst_sel:DWORD dst_unused:UNUSED_PAD src0_sel:DWORD src1_sel:WORD_1
	v_fma_f16 v29, v29, v54, v48
	v_mul_f16_sdwa v48, v63, v55 dst_sel:DWORD dst_unused:UNUSED_PAD src0_sel:DWORD src1_sel:WORD_1
	v_mul_f16_sdwa v54, v72, v53 dst_sel:DWORD dst_unused:UNUSED_PAD src0_sel:DWORD src1_sel:WORD_1
	s_waitcnt lgkmcnt(0)
	v_add_f16_e32 v63, v11, v10
	v_fma_f16 v30, v30, v55, v48
	v_fma_f16 v27, v27, v53, v54
	v_mul_f16_sdwa v53, v67, v56 dst_sel:DWORD dst_unused:UNUSED_PAD src0_sel:DWORD src1_sel:WORD_1
	v_add_f16_e32 v54, v34, v38
	v_sub_f16_e32 v59, v11, v37
	v_sub_f16_e32 v61, v34, v38
	v_add_f16_e32 v63, v34, v63
	v_sub_f16_e32 v34, v34, v11
	v_add_f16_e32 v11, v11, v37
	v_sub_f16_e32 v48, v29, v30
	v_fma_f16 v28, v28, v56, v53
	v_fma_f16 v54, v54, -0.5, v10
	v_fma_f16 v10, v11, -0.5, v10
	v_sub_f16_e32 v53, v27, v28
	v_add_f16_e32 v63, v38, v63
	v_sub_f16_e32 v38, v38, v37
	v_fma_f16 v11, v48, s9, v10
	v_fma_f16 v10, v48, s7, v10
	v_add_f16_e32 v34, v34, v38
	v_fma_f16 v11, v53, s8, v11
	v_fma_f16 v10, v53, s14, v10
	;; [unrolled: 1-line block ×3, first 2 shown]
	v_add_f16_e32 v63, v37, v63
	v_fma_f16 v37, v34, s6, v11
	v_fma_f16 v34, v34, s6, v10
	;; [unrolled: 1-line block ×7, first 2 shown]
	v_sub_f16_e32 v10, v29, v27
	v_sub_f16_e32 v11, v30, v28
	;; [unrolled: 1-line block ×4, first 2 shown]
	v_add_f16_e32 v10, v10, v11
	v_add_f16_e32 v11, v27, v28
	;; [unrolled: 1-line block ×4, first 2 shown]
	v_fma_f16 v11, v11, -0.5, v25
	v_fma_f16 v58, v58, -0.5, v25
	v_add_f16_e32 v64, v25, v27
	v_fma_f16 v25, v61, s7, v11
	v_fma_f16 v11, v61, s9, v11
	v_fma_f16 v25, v59, s14, v25
	v_fma_f16 v11, v59, s8, v11
	v_add_f16_e32 v64, v64, v29
	v_fma_f16 v25, v10, s6, v25
	v_fma_f16 v27, v10, s6, v11
	;; [unrolled: 1-line block ×3, first 2 shown]
	v_add_f16_e32 v64, v64, v30
	v_fma_f16 v10, v61, s14, v10
	v_add_f16_e32 v64, v28, v64
	v_fma_f16 v28, v56, s6, v10
	v_mul_f16_sdwa v10, v21, v49 dst_sel:DWORD dst_unused:UNUSED_PAD src0_sel:DWORD src1_sel:WORD_1
	v_mul_f16_sdwa v11, v20, v50 dst_sel:DWORD dst_unused:UNUSED_PAD src0_sel:DWORD src1_sel:WORD_1
	;; [unrolled: 1-line block ×4, first 2 shown]
	v_fma_f16 v10, v73, v49, -v10
	v_fma_f16 v11, v62, v50, -v11
	;; [unrolled: 1-line block ×4, first 2 shown]
	v_mul_f16_sdwa v53, v73, v49 dst_sel:DWORD dst_unused:UNUSED_PAD src0_sel:DWORD src1_sel:WORD_1
	v_sub_f16_e32 v29, v10, v11
	v_sub_f16_e32 v48, v30, v38
	v_fma_f16 v21, v21, v49, v53
	v_mul_f16_sdwa v49, v68, v52 dst_sel:DWORD dst_unused:UNUSED_PAD src0_sel:DWORD src1_sel:WORD_1
	v_mul_f16_sdwa v53, v62, v50 dst_sel:DWORD dst_unused:UNUSED_PAD src0_sel:DWORD src1_sel:WORD_1
	v_fma_f16 v60, v59, s7, v58
	v_add_f16_e32 v29, v29, v48
	v_add_f16_e32 v48, v11, v38
	v_fma_f16 v23, v23, v52, v49
	v_fma_f16 v50, v20, v50, v53
	v_mul_f16_sdwa v20, v57, v51 dst_sel:DWORD dst_unused:UNUSED_PAD src0_sel:DWORD src1_sel:WORD_1
	v_sub_f16_e32 v58, v11, v10
	v_sub_f16_e32 v59, v38, v30
	v_fma_f16 v48, v48, -0.5, v0
	v_sub_f16_e32 v49, v21, v23
	v_fma_f16 v51, v19, v51, v20
	v_add_f16_e32 v58, v58, v59
	v_add_f16_e32 v59, v10, v30
	v_fma_f16 v52, v49, s7, v48
	v_sub_f16_e32 v19, v50, v51
	v_fma_f16 v59, v59, -0.5, v0
	v_fma_f16 v48, v49, s9, v48
	v_fma_f16 v60, v61, s8, v60
	;; [unrolled: 1-line block ×6, first 2 shown]
	v_mul_hi_u32 v48, v9, s0
	v_sub_f16_e32 v54, v10, v30
	v_add_f16_e32 v0, v10, v0
	v_fma_f16 v52, v29, s6, v20
	v_lshrrev_b32_e32 v10, 8, v48
	v_mul_u32_u24_e32 v10, 0x145, v10
	v_sub_u32_e32 v48, v9, v10
	v_sub_f16_e32 v20, v21, v50
	v_sub_f16_e32 v53, v23, v51
	;; [unrolled: 1-line block ×3, first 2 shown]
	v_add_f16_e32 v0, v11, v0
	v_mad_u64_u32 v[10:11], s[4:5], s2, v48, 0
	v_add_f16_e32 v20, v20, v53
	v_add_f16_e32 v53, v50, v51
	v_fma_f16 v53, v53, -0.5, v14
	v_fma_f16 v78, v69, s7, v77
	v_fma_f16 v60, v56, s6, v60
	;; [unrolled: 1-line block ×5, first 2 shown]
	v_add_f16_e32 v0, v38, v0
	v_fma_f16 v78, v65, s14, v78
	v_fma_f16 v56, v57, s14, v56
	v_sub_f16_e32 v62, v50, v21
	v_sub_f16_e32 v65, v51, v23
	v_fma_f16 v19, v57, s8, v19
	v_add_f16_e32 v30, v30, v0
	v_mov_b32_e32 v0, v11
	v_fma_f16 v56, v20, s6, v56
	v_fma_f16 v61, v49, s8, v61
	v_add_f16_e32 v62, v62, v65
	v_add_f16_e32 v65, v21, v23
	v_fma_f16 v59, v49, s14, v59
	v_fma_f16 v49, v20, s6, v19
	v_mad_u64_u32 v[19:20], s[4:5], s3, v48, v[0:1]
	v_fma_f16 v65, v65, -0.5, v14
	v_add_f16_e32 v14, v14, v21
	v_add_f16_e32 v0, v14, v50
	;; [unrolled: 1-line block ×4, first 2 shown]
	v_mov_b32_e32 v11, v19
	v_mov_b32_e32 v0, s11
	v_add_co_u32_e32 v19, vcc, s10, v3
	v_add_u32_e32 v20, 0x145, v48
	v_addc_co_u32_e32 v4, vcc, v0, v4, vcc
	v_lshlrev_b64 v[0:1], 2, v[1:2]
	v_mad_u64_u32 v[2:3], s[4:5], s2, v20, 0
	v_add_co_u32_e32 v19, vcc, v19, v0
	v_addc_co_u32_e32 v21, vcc, v4, v1, vcc
	v_lshlrev_b64 v[0:1], 2, v[10:11]
	v_mad_u64_u32 v[3:4], s[4:5], s3, v20, v[3:4]
	v_add_co_u32_e32 v0, vcc, v19, v0
	v_addc_co_u32_e32 v1, vcc, v21, v1, vcc
	v_pack_b32_f16 v4, v14, v30
	global_store_dword v[0:1], v4, off
	v_add_u32_e32 v4, 0x28a, v48
	v_lshlrev_b64 v[0:1], 2, v[2:3]
	v_mad_u64_u32 v[2:3], s[4:5], s2, v4, 0
	v_add_co_u32_e32 v0, vcc, v19, v0
	v_mad_u64_u32 v[3:4], s[4:5], s3, v4, v[3:4]
	v_add_u32_e32 v4, 0x3cf, v48
	v_mad_u64_u32 v[10:11], s[4:5], s2, v4, 0
	v_addc_co_u32_e32 v1, vcc, v21, v1, vcc
	v_pack_b32_f16 v14, v49, v29
	global_store_dword v[0:1], v14, off
	v_lshlrev_b64 v[0:1], 2, v[2:3]
	v_mov_b32_e32 v2, v11
	v_fma_f16 v61, v58, s6, v61
	v_fma_f16 v58, v58, s6, v59
	;; [unrolled: 1-line block ×3, first 2 shown]
	v_mad_u64_u32 v[2:3], s[4:5], s3, v4, v[2:3]
	v_fma_f16 v59, v54, s8, v59
	v_fma_f16 v59, v62, s6, v59
	v_add_co_u32_e32 v0, vcc, v19, v0
	v_addc_co_u32_e32 v1, vcc, v21, v1, vcc
	v_pack_b32_f16 v3, v59, v58
	v_add_u32_e32 v4, 0x514, v48
	global_store_dword v[0:1], v3, off
	v_mov_b32_e32 v11, v2
	v_mad_u64_u32 v[2:3], s[4:5], s2, v4, 0
	v_fma_f16 v67, v57, s7, v65
	v_lshlrev_b64 v[0:1], 2, v[10:11]
	v_mad_u64_u32 v[3:4], s[4:5], s3, v4, v[3:4]
	v_add_u32_e32 v4, 0x41, v9
	v_mul_hi_u32 v11, v4, s0
	v_fma_f16 v67, v54, s14, v67
	v_fma_f16 v67, v62, s6, v67
	v_add_co_u32_e32 v0, vcc, v19, v0
	v_addc_co_u32_e32 v1, vcc, v21, v1, vcc
	v_pack_b32_f16 v10, v67, v61
	global_store_dword v[0:1], v10, off
	v_lshlrev_b64 v[0:1], 2, v[2:3]
	v_lshrrev_b32_e32 v2, 8, v11
	v_mul_u32_u24_e32 v3, 0x145, v2
	v_sub_u32_e32 v3, v4, v3
	v_mad_u32_u24 v14, v2, s1, v3
	v_mad_u64_u32 v[2:3], s[4:5], s2, v14, 0
	v_add_co_u32_e32 v0, vcc, v19, v0
	v_mad_u64_u32 v[3:4], s[4:5], s3, v14, v[3:4]
	v_add_u32_e32 v4, 0x145, v14
	v_mad_u64_u32 v[10:11], s[4:5], s2, v4, 0
	v_addc_co_u32_e32 v1, vcc, v21, v1, vcc
	v_pack_b32_f16 v20, v56, v52
	global_store_dword v[0:1], v20, off
	v_lshlrev_b64 v[0:1], 2, v[2:3]
	v_mov_b32_e32 v2, v11
	v_mad_u64_u32 v[2:3], s[4:5], s3, v4, v[2:3]
	v_add_co_u32_e32 v0, vcc, v19, v0
	v_addc_co_u32_e32 v1, vcc, v21, v1, vcc
	v_pack_b32_f16 v3, v64, v63
	v_add_u32_e32 v4, 0x28a, v14
	global_store_dword v[0:1], v3, off
	v_mov_b32_e32 v11, v2
	v_mad_u64_u32 v[2:3], s[4:5], s2, v4, 0
	v_lshlrev_b64 v[0:1], 2, v[10:11]
	v_pack_b32_f16 v20, v60, v55
	v_mad_u64_u32 v[3:4], s[4:5], s3, v4, v[3:4]
	v_add_u32_e32 v4, 0x3cf, v14
	v_mad_u64_u32 v[10:11], s[4:5], s2, v4, 0
	v_add_co_u32_e32 v0, vcc, v19, v0
	v_addc_co_u32_e32 v1, vcc, v21, v1, vcc
	global_store_dword v[0:1], v20, off
	v_lshlrev_b64 v[0:1], 2, v[2:3]
	v_mov_b32_e32 v2, v11
	v_mad_u64_u32 v[2:3], s[4:5], s3, v4, v[2:3]
	v_add_co_u32_e32 v0, vcc, v19, v0
	v_addc_co_u32_e32 v1, vcc, v21, v1, vcc
	v_pack_b32_f16 v3, v27, v34
	v_add_u32_e32 v4, 0x514, v14
	global_store_dword v[0:1], v3, off
	v_mov_b32_e32 v11, v2
	v_mad_u64_u32 v[2:3], s[4:5], s2, v4, 0
	v_lshlrev_b64 v[0:1], 2, v[10:11]
	v_pack_b32_f16 v10, v25, v37
	v_mad_u64_u32 v[3:4], s[4:5], s3, v4, v[3:4]
	v_add_u32_e32 v4, 0x82, v9
	v_mul_hi_u32 v11, v4, s0
	v_add_co_u32_e32 v0, vcc, v19, v0
	v_addc_co_u32_e32 v1, vcc, v21, v1, vcc
	global_store_dword v[0:1], v10, off
	v_lshlrev_b64 v[0:1], 2, v[2:3]
	v_lshrrev_b32_e32 v2, 8, v11
	v_mul_u32_u24_e32 v3, 0x145, v2
	v_sub_u32_e32 v3, v4, v3
	v_mad_u32_u24 v14, v2, s1, v3
	v_mad_u64_u32 v[2:3], s[4:5], s2, v14, 0
	v_add_co_u32_e32 v0, vcc, v19, v0
	v_mad_u64_u32 v[3:4], s[4:5], s3, v14, v[3:4]
	v_add_u32_e32 v4, 0x145, v14
	v_mad_u64_u32 v[10:11], s[4:5], s2, v4, 0
	v_addc_co_u32_e32 v1, vcc, v21, v1, vcc
	v_pack_b32_f16 v20, v28, v36
	global_store_dword v[0:1], v20, off
	v_lshlrev_b64 v[0:1], 2, v[2:3]
	v_mov_b32_e32 v2, v11
	v_mad_u64_u32 v[2:3], s[4:5], s3, v4, v[2:3]
	v_add_co_u32_e32 v0, vcc, v19, v0
	v_addc_co_u32_e32 v1, vcc, v21, v1, vcc
	v_pack_b32_f16 v3, v31, v41
	v_add_u32_e32 v4, 0x28a, v14
	global_store_dword v[0:1], v3, off
	v_mov_b32_e32 v11, v2
	v_mad_u64_u32 v[2:3], s[4:5], s2, v4, 0
	v_lshlrev_b64 v[0:1], 2, v[10:11]
	v_pack_b32_f16 v20, v46, v44
	v_mad_u64_u32 v[3:4], s[4:5], s3, v4, v[3:4]
	v_add_u32_e32 v4, 0x3cf, v14
	v_mad_u64_u32 v[10:11], s[4:5], s2, v4, 0
	v_add_co_u32_e32 v0, vcc, v19, v0
	v_addc_co_u32_e32 v1, vcc, v21, v1, vcc
	global_store_dword v[0:1], v20, off
	v_lshlrev_b64 v[0:1], 2, v[2:3]
	v_mov_b32_e32 v2, v11
	v_mad_u64_u32 v[2:3], s[4:5], s3, v4, v[2:3]
	v_fma_f16 v74, v70, s6, v74
	v_fma_f16 v70, v70, s6, v71
	v_add_co_u32_e32 v0, vcc, v19, v0
	v_addc_co_u32_e32 v1, vcc, v21, v1, vcc
	v_pack_b32_f16 v3, v45, v70
	v_add_u32_e32 v4, 0x514, v14
	global_store_dword v[0:1], v3, off
	v_mov_b32_e32 v11, v2
	v_mad_u64_u32 v[2:3], s[4:5], s2, v4, 0
	v_lshlrev_b64 v[0:1], 2, v[10:11]
	v_fma_f16 v78, v75, s6, v78
	v_mad_u64_u32 v[3:4], s[4:5], s3, v4, v[3:4]
	v_add_u32_e32 v4, 0xc3, v9
	v_mul_hi_u32 v11, v4, s0
	v_add_co_u32_e32 v0, vcc, v19, v0
	v_addc_co_u32_e32 v1, vcc, v21, v1, vcc
	v_pack_b32_f16 v10, v78, v74
	global_store_dword v[0:1], v10, off
	v_lshlrev_b64 v[0:1], 2, v[2:3]
	v_lshrrev_b32_e32 v2, 8, v11
	v_mul_u32_u24_e32 v3, 0x145, v2
	v_sub_u32_e32 v3, v4, v3
	v_mad_u32_u24 v14, v2, s1, v3
	v_mad_u64_u32 v[2:3], s[4:5], s2, v14, 0
	v_add_co_u32_e32 v0, vcc, v19, v0
	v_mad_u64_u32 v[3:4], s[4:5], s3, v14, v[3:4]
	v_add_u32_e32 v4, 0x145, v14
	v_mad_u64_u32 v[10:11], s[4:5], s2, v4, 0
	v_addc_co_u32_e32 v1, vcc, v21, v1, vcc
	v_pack_b32_f16 v20, v66, v47
	global_store_dword v[0:1], v20, off
	v_lshlrev_b64 v[0:1], 2, v[2:3]
	v_mov_b32_e32 v2, v11
	v_mad_u64_u32 v[2:3], s[4:5], s3, v4, v[2:3]
	v_add_co_u32_e32 v0, vcc, v19, v0
	v_addc_co_u32_e32 v1, vcc, v21, v1, vcc
	v_pack_b32_f16 v3, v6, v5
	v_add_u32_e32 v4, 0x28a, v14
	global_store_dword v[0:1], v3, off
	v_mov_b32_e32 v11, v2
	v_mad_u64_u32 v[2:3], s[4:5], s2, v4, 0
	v_lshlrev_b64 v[0:1], 2, v[10:11]
	v_add_u32_e32 v10, 0x3cf, v14
	v_mad_u64_u32 v[3:4], s[4:5], s3, v4, v[3:4]
	v_mad_u64_u32 v[4:5], s[4:5], s2, v10, 0
	v_add_co_u32_e32 v0, vcc, v19, v0
	v_addc_co_u32_e32 v1, vcc, v21, v1, vcc
	v_pack_b32_f16 v6, v43, v42
	global_store_dword v[0:1], v6, off
	v_lshlrev_b64 v[0:1], 2, v[2:3]
	v_mov_b32_e32 v2, v5
	v_mad_u64_u32 v[2:3], s[4:5], s3, v10, v[2:3]
	v_add_co_u32_e32 v0, vcc, v19, v0
	v_addc_co_u32_e32 v1, vcc, v21, v1, vcc
	v_pack_b32_f16 v3, v40, v39
	v_mov_b32_e32 v5, v2
	global_store_dword v[0:1], v3, off
	v_lshlrev_b64 v[0:1], 2, v[4:5]
	v_add_u32_e32 v4, 0x514, v14
	v_mad_u64_u32 v[2:3], s[4:5], s2, v4, 0
	v_add_u32_e32 v5, 0x104, v9
	v_mul_hi_u32 v9, v5, s0
	v_mad_u64_u32 v[3:4], s[4:5], s3, v4, v[3:4]
	v_add_co_u32_e32 v0, vcc, v19, v0
	v_lshrrev_b32_e32 v4, 8, v9
	v_mul_u32_u24_e32 v9, 0x145, v4
	v_sub_u32_e32 v5, v5, v9
	v_mad_u32_u24 v9, v4, s1, v5
	v_mad_u64_u32 v[4:5], s[0:1], s2, v9, 0
	v_addc_co_u32_e32 v1, vcc, v21, v1, vcc
	v_pack_b32_f16 v6, v35, v33
	global_store_dword v[0:1], v6, off
	v_lshlrev_b64 v[0:1], 2, v[2:3]
	v_mov_b32_e32 v2, v5
	v_mad_u64_u32 v[2:3], s[0:1], s3, v9, v[2:3]
	v_add_co_u32_e32 v0, vcc, v19, v0
	v_addc_co_u32_e32 v1, vcc, v21, v1, vcc
	v_pack_b32_f16 v3, v32, v12
	v_mov_b32_e32 v5, v2
	global_store_dword v[0:1], v3, off
	v_lshlrev_b64 v[0:1], 2, v[4:5]
	v_add_u32_e32 v4, 0x145, v9
	v_mad_u64_u32 v[2:3], s[0:1], s2, v4, 0
	v_add_u32_e32 v10, 0x28a, v9
	v_add_co_u32_e32 v0, vcc, v19, v0
	v_mad_u64_u32 v[3:4], s[0:1], s3, v4, v[3:4]
	v_mad_u64_u32 v[4:5], s[0:1], s2, v10, 0
	v_addc_co_u32_e32 v1, vcc, v21, v1, vcc
	v_pack_b32_f16 v6, v26, v22
	global_store_dword v[0:1], v6, off
	v_lshlrev_b64 v[0:1], 2, v[2:3]
	v_mov_b32_e32 v2, v5
	v_mad_u64_u32 v[2:3], s[0:1], s3, v10, v[2:3]
	v_add_co_u32_e32 v0, vcc, v19, v0
	v_addc_co_u32_e32 v1, vcc, v21, v1, vcc
	v_pack_b32_f16 v3, v24, v18
	v_mov_b32_e32 v5, v2
	global_store_dword v[0:1], v3, off
	v_lshlrev_b64 v[0:1], 2, v[4:5]
	v_add_u32_e32 v4, 0x3cf, v9
	v_mad_u64_u32 v[2:3], s[0:1], s2, v4, 0
	v_add_u32_e32 v9, 0x514, v9
	v_add_co_u32_e32 v0, vcc, v19, v0
	v_mad_u64_u32 v[3:4], s[0:1], s3, v4, v[3:4]
	v_mad_u64_u32 v[4:5], s[0:1], s2, v9, 0
	v_addc_co_u32_e32 v1, vcc, v21, v1, vcc
	v_pack_b32_f16 v6, v17, v16
	global_store_dword v[0:1], v6, off
	v_lshlrev_b64 v[0:1], 2, v[2:3]
	v_mov_b32_e32 v2, v5
	v_mad_u64_u32 v[2:3], s[0:1], s3, v9, v[2:3]
	v_add_co_u32_e32 v0, vcc, v19, v0
	v_addc_co_u32_e32 v1, vcc, v21, v1, vcc
	v_pack_b32_f16 v3, v13, v8
	v_mov_b32_e32 v5, v2
	global_store_dword v[0:1], v3, off
	v_lshlrev_b64 v[0:1], 2, v[4:5]
	v_pack_b32_f16 v2, v15, v7
	v_add_co_u32_e32 v0, vcc, v19, v0
	v_addc_co_u32_e32 v1, vcc, v21, v1, vcc
	global_store_dword v[0:1], v2, off
.LBB0_21:
	s_endpgm
	.section	.rodata,"a",@progbits
	.p2align	6, 0x0
	.amdhsa_kernel fft_rtc_back_len1625_factors_13_5_5_5_wgs_130_tpt_65_halfLds_half_op_CI_CI_sbrr_dirReg
		.amdhsa_group_segment_fixed_size 0
		.amdhsa_private_segment_fixed_size 0
		.amdhsa_kernarg_size 104
		.amdhsa_user_sgpr_count 6
		.amdhsa_user_sgpr_private_segment_buffer 1
		.amdhsa_user_sgpr_dispatch_ptr 0
		.amdhsa_user_sgpr_queue_ptr 0
		.amdhsa_user_sgpr_kernarg_segment_ptr 1
		.amdhsa_user_sgpr_dispatch_id 0
		.amdhsa_user_sgpr_flat_scratch_init 0
		.amdhsa_user_sgpr_private_segment_size 0
		.amdhsa_uses_dynamic_stack 0
		.amdhsa_system_sgpr_private_segment_wavefront_offset 0
		.amdhsa_system_sgpr_workgroup_id_x 1
		.amdhsa_system_sgpr_workgroup_id_y 0
		.amdhsa_system_sgpr_workgroup_id_z 0
		.amdhsa_system_sgpr_workgroup_info 0
		.amdhsa_system_vgpr_workitem_id 0
		.amdhsa_next_free_vgpr 105
		.amdhsa_next_free_sgpr 49
		.amdhsa_reserve_vcc 1
		.amdhsa_reserve_flat_scratch 0
		.amdhsa_float_round_mode_32 0
		.amdhsa_float_round_mode_16_64 0
		.amdhsa_float_denorm_mode_32 3
		.amdhsa_float_denorm_mode_16_64 3
		.amdhsa_dx10_clamp 1
		.amdhsa_ieee_mode 1
		.amdhsa_fp16_overflow 0
		.amdhsa_exception_fp_ieee_invalid_op 0
		.amdhsa_exception_fp_denorm_src 0
		.amdhsa_exception_fp_ieee_div_zero 0
		.amdhsa_exception_fp_ieee_overflow 0
		.amdhsa_exception_fp_ieee_underflow 0
		.amdhsa_exception_fp_ieee_inexact 0
		.amdhsa_exception_int_div_zero 0
	.end_amdhsa_kernel
	.text
.Lfunc_end0:
	.size	fft_rtc_back_len1625_factors_13_5_5_5_wgs_130_tpt_65_halfLds_half_op_CI_CI_sbrr_dirReg, .Lfunc_end0-fft_rtc_back_len1625_factors_13_5_5_5_wgs_130_tpt_65_halfLds_half_op_CI_CI_sbrr_dirReg
                                        ; -- End function
	.section	.AMDGPU.csdata,"",@progbits
; Kernel info:
; codeLenInByte = 18868
; NumSgprs: 53
; NumVgprs: 105
; ScratchSize: 0
; MemoryBound: 0
; FloatMode: 240
; IeeeMode: 1
; LDSByteSize: 0 bytes/workgroup (compile time only)
; SGPRBlocks: 6
; VGPRBlocks: 26
; NumSGPRsForWavesPerEU: 53
; NumVGPRsForWavesPerEU: 105
; Occupancy: 2
; WaveLimiterHint : 1
; COMPUTE_PGM_RSRC2:SCRATCH_EN: 0
; COMPUTE_PGM_RSRC2:USER_SGPR: 6
; COMPUTE_PGM_RSRC2:TRAP_HANDLER: 0
; COMPUTE_PGM_RSRC2:TGID_X_EN: 1
; COMPUTE_PGM_RSRC2:TGID_Y_EN: 0
; COMPUTE_PGM_RSRC2:TGID_Z_EN: 0
; COMPUTE_PGM_RSRC2:TIDIG_COMP_CNT: 0
	.type	__hip_cuid_5d9fd258858288a3,@object ; @__hip_cuid_5d9fd258858288a3
	.section	.bss,"aw",@nobits
	.globl	__hip_cuid_5d9fd258858288a3
__hip_cuid_5d9fd258858288a3:
	.byte	0                               ; 0x0
	.size	__hip_cuid_5d9fd258858288a3, 1

	.ident	"AMD clang version 19.0.0git (https://github.com/RadeonOpenCompute/llvm-project roc-6.4.0 25133 c7fe45cf4b819c5991fe208aaa96edf142730f1d)"
	.section	".note.GNU-stack","",@progbits
	.addrsig
	.addrsig_sym __hip_cuid_5d9fd258858288a3
	.amdgpu_metadata
---
amdhsa.kernels:
  - .args:
      - .actual_access:  read_only
        .address_space:  global
        .offset:         0
        .size:           8
        .value_kind:     global_buffer
      - .offset:         8
        .size:           8
        .value_kind:     by_value
      - .actual_access:  read_only
        .address_space:  global
        .offset:         16
        .size:           8
        .value_kind:     global_buffer
      - .actual_access:  read_only
        .address_space:  global
        .offset:         24
        .size:           8
        .value_kind:     global_buffer
      - .actual_access:  read_only
        .address_space:  global
        .offset:         32
        .size:           8
        .value_kind:     global_buffer
      - .offset:         40
        .size:           8
        .value_kind:     by_value
      - .actual_access:  read_only
        .address_space:  global
        .offset:         48
        .size:           8
        .value_kind:     global_buffer
      - .actual_access:  read_only
        .address_space:  global
        .offset:         56
        .size:           8
        .value_kind:     global_buffer
      - .offset:         64
        .size:           4
        .value_kind:     by_value
      - .actual_access:  read_only
        .address_space:  global
        .offset:         72
        .size:           8
        .value_kind:     global_buffer
      - .actual_access:  read_only
        .address_space:  global
        .offset:         80
        .size:           8
        .value_kind:     global_buffer
      - .actual_access:  read_only
        .address_space:  global
        .offset:         88
        .size:           8
        .value_kind:     global_buffer
      - .actual_access:  write_only
        .address_space:  global
        .offset:         96
        .size:           8
        .value_kind:     global_buffer
    .group_segment_fixed_size: 0
    .kernarg_segment_align: 8
    .kernarg_segment_size: 104
    .language:       OpenCL C
    .language_version:
      - 2
      - 0
    .max_flat_workgroup_size: 130
    .name:           fft_rtc_back_len1625_factors_13_5_5_5_wgs_130_tpt_65_halfLds_half_op_CI_CI_sbrr_dirReg
    .private_segment_fixed_size: 0
    .sgpr_count:     53
    .sgpr_spill_count: 0
    .symbol:         fft_rtc_back_len1625_factors_13_5_5_5_wgs_130_tpt_65_halfLds_half_op_CI_CI_sbrr_dirReg.kd
    .uniform_work_group_size: 1
    .uses_dynamic_stack: false
    .vgpr_count:     105
    .vgpr_spill_count: 0
    .wavefront_size: 64
amdhsa.target:   amdgcn-amd-amdhsa--gfx906
amdhsa.version:
  - 1
  - 2
...

	.end_amdgpu_metadata
